;; amdgpu-corpus repo=ROCm/rocFFT kind=compiled arch=gfx950 opt=O3
	.text
	.amdgcn_target "amdgcn-amd-amdhsa--gfx950"
	.amdhsa_code_object_version 6
	.protected	fft_rtc_back_len1650_factors_11_2_3_5_5_wgs_110_tpt_110_halfLds_sp_op_CI_CI_unitstride_sbrr_R2C_dirReg ; -- Begin function fft_rtc_back_len1650_factors_11_2_3_5_5_wgs_110_tpt_110_halfLds_sp_op_CI_CI_unitstride_sbrr_R2C_dirReg
	.globl	fft_rtc_back_len1650_factors_11_2_3_5_5_wgs_110_tpt_110_halfLds_sp_op_CI_CI_unitstride_sbrr_R2C_dirReg
	.p2align	8
	.type	fft_rtc_back_len1650_factors_11_2_3_5_5_wgs_110_tpt_110_halfLds_sp_op_CI_CI_unitstride_sbrr_R2C_dirReg,@function
fft_rtc_back_len1650_factors_11_2_3_5_5_wgs_110_tpt_110_halfLds_sp_op_CI_CI_unitstride_sbrr_R2C_dirReg: ; @fft_rtc_back_len1650_factors_11_2_3_5_5_wgs_110_tpt_110_halfLds_sp_op_CI_CI_unitstride_sbrr_R2C_dirReg
; %bb.0:
	s_load_dwordx4 s[4:7], s[0:1], 0x58
	s_load_dwordx4 s[8:11], s[0:1], 0x0
	;; [unrolled: 1-line block ×3, first 2 shown]
	v_mul_u32_u24_e32 v1, 0x254, v0
	v_add_u32_sdwa v6, s2, v1 dst_sel:DWORD dst_unused:UNUSED_PAD src0_sel:DWORD src1_sel:WORD_1
	v_mov_b32_e32 v4, 0
	s_waitcnt lgkmcnt(0)
	v_cmp_lt_u64_e64 s[2:3], s[10:11], 2
	v_mov_b32_e32 v7, v4
	s_and_b64 vcc, exec, s[2:3]
	v_mov_b64_e32 v[2:3], 0
	s_cbranch_vccnz .LBB0_8
; %bb.1:
	s_load_dwordx2 s[2:3], s[0:1], 0x10
	s_add_u32 s16, s14, 8
	s_addc_u32 s17, s15, 0
	s_add_u32 s18, s12, 8
	s_addc_u32 s19, s13, 0
	s_waitcnt lgkmcnt(0)
	s_add_u32 s20, s2, 8
	v_mov_b64_e32 v[2:3], 0
	s_addc_u32 s21, s3, 0
	s_mov_b64 s[22:23], 1
	v_mov_b64_e32 v[44:45], v[2:3]
.LBB0_2:                                ; =>This Inner Loop Header: Depth=1
	s_load_dwordx2 s[24:25], s[20:21], 0x0
                                        ; implicit-def: $vgpr48_vgpr49
	s_waitcnt lgkmcnt(0)
	v_or_b32_e32 v5, s25, v7
	v_cmp_ne_u64_e32 vcc, 0, v[4:5]
	s_and_saveexec_b64 s[2:3], vcc
	s_xor_b64 s[26:27], exec, s[2:3]
	s_cbranch_execz .LBB0_4
; %bb.3:                                ;   in Loop: Header=BB0_2 Depth=1
	v_cvt_f32_u32_e32 v1, s24
	v_cvt_f32_u32_e32 v5, s25
	s_sub_u32 s2, 0, s24
	s_subb_u32 s3, 0, s25
	v_fmac_f32_e32 v1, 0x4f800000, v5
	v_rcp_f32_e32 v1, v1
	s_nop 0
	v_mul_f32_e32 v1, 0x5f7ffffc, v1
	v_mul_f32_e32 v5, 0x2f800000, v1
	v_trunc_f32_e32 v5, v5
	v_fmac_f32_e32 v1, 0xcf800000, v5
	v_cvt_u32_f32_e32 v5, v5
	v_cvt_u32_f32_e32 v1, v1
	v_mul_lo_u32 v8, s2, v5
	v_mul_hi_u32 v10, s2, v1
	v_mul_lo_u32 v9, s3, v1
	v_add_u32_e32 v10, v10, v8
	v_mul_lo_u32 v12, s2, v1
	v_add_u32_e32 v13, v10, v9
	v_mul_hi_u32 v8, v1, v12
	v_mul_hi_u32 v11, v1, v13
	v_mul_lo_u32 v10, v1, v13
	v_mov_b32_e32 v9, v4
	v_lshl_add_u64 v[8:9], v[8:9], 0, v[10:11]
	v_mul_hi_u32 v11, v5, v12
	v_mul_lo_u32 v12, v5, v12
	v_add_co_u32_e32 v8, vcc, v8, v12
	v_mul_hi_u32 v10, v5, v13
	s_nop 0
	v_addc_co_u32_e32 v8, vcc, v9, v11, vcc
	v_mov_b32_e32 v9, v4
	s_nop 0
	v_addc_co_u32_e32 v11, vcc, 0, v10, vcc
	v_mul_lo_u32 v10, v5, v13
	v_lshl_add_u64 v[8:9], v[8:9], 0, v[10:11]
	v_add_co_u32_e32 v1, vcc, v1, v8
	v_mul_lo_u32 v10, s2, v1
	s_nop 0
	v_addc_co_u32_e32 v5, vcc, v5, v9, vcc
	v_mul_lo_u32 v8, s2, v5
	v_mul_hi_u32 v9, s2, v1
	v_add_u32_e32 v8, v9, v8
	v_mul_lo_u32 v9, s3, v1
	v_add_u32_e32 v12, v8, v9
	v_mul_hi_u32 v14, v5, v10
	v_mul_lo_u32 v15, v5, v10
	v_mul_hi_u32 v9, v1, v12
	v_mul_lo_u32 v8, v1, v12
	v_mul_hi_u32 v10, v1, v10
	v_mov_b32_e32 v11, v4
	v_lshl_add_u64 v[8:9], v[10:11], 0, v[8:9]
	v_add_co_u32_e32 v8, vcc, v8, v15
	v_mul_hi_u32 v13, v5, v12
	s_nop 0
	v_addc_co_u32_e32 v8, vcc, v9, v14, vcc
	v_mul_lo_u32 v10, v5, v12
	s_nop 0
	v_addc_co_u32_e32 v11, vcc, 0, v13, vcc
	v_mov_b32_e32 v9, v4
	v_lshl_add_u64 v[8:9], v[8:9], 0, v[10:11]
	v_add_co_u32_e32 v1, vcc, v1, v8
	v_mul_hi_u32 v10, v6, v1
	s_nop 0
	v_addc_co_u32_e32 v5, vcc, v5, v9, vcc
	v_mad_u64_u32 v[8:9], s[2:3], v6, v5, 0
	v_mov_b32_e32 v11, v4
	v_lshl_add_u64 v[8:9], v[10:11], 0, v[8:9]
	v_mad_u64_u32 v[12:13], s[2:3], v7, v1, 0
	v_add_co_u32_e32 v1, vcc, v8, v12
	v_mad_u64_u32 v[10:11], s[2:3], v7, v5, 0
	s_nop 0
	v_addc_co_u32_e32 v8, vcc, v9, v13, vcc
	v_mov_b32_e32 v9, v4
	s_nop 0
	v_addc_co_u32_e32 v11, vcc, 0, v11, vcc
	v_lshl_add_u64 v[8:9], v[8:9], 0, v[10:11]
	v_mul_lo_u32 v1, s25, v8
	v_mul_lo_u32 v5, s24, v9
	v_mad_u64_u32 v[10:11], s[2:3], s24, v8, 0
	v_add3_u32 v1, v11, v5, v1
	v_sub_u32_e32 v5, v7, v1
	v_mov_b32_e32 v11, s25
	v_sub_co_u32_e32 v14, vcc, v6, v10
	v_lshl_add_u64 v[12:13], v[8:9], 0, 1
	s_nop 0
	v_subb_co_u32_e64 v5, s[2:3], v5, v11, vcc
	v_subrev_co_u32_e64 v10, s[2:3], s24, v14
	v_subb_co_u32_e32 v1, vcc, v7, v1, vcc
	s_nop 0
	v_subbrev_co_u32_e64 v5, s[2:3], 0, v5, s[2:3]
	v_cmp_le_u32_e64 s[2:3], s25, v5
	v_cmp_le_u32_e32 vcc, s25, v1
	s_nop 0
	v_cndmask_b32_e64 v11, 0, -1, s[2:3]
	v_cmp_le_u32_e64 s[2:3], s24, v10
	s_nop 1
	v_cndmask_b32_e64 v10, 0, -1, s[2:3]
	v_cmp_eq_u32_e64 s[2:3], s25, v5
	s_nop 1
	v_cndmask_b32_e64 v5, v11, v10, s[2:3]
	v_lshl_add_u64 v[10:11], v[8:9], 0, 2
	v_cmp_ne_u32_e64 s[2:3], 0, v5
	s_nop 1
	v_cndmask_b32_e64 v5, v13, v11, s[2:3]
	v_cndmask_b32_e64 v11, 0, -1, vcc
	v_cmp_le_u32_e32 vcc, s24, v14
	s_nop 1
	v_cndmask_b32_e64 v13, 0, -1, vcc
	v_cmp_eq_u32_e32 vcc, s25, v1
	s_nop 1
	v_cndmask_b32_e32 v1, v11, v13, vcc
	v_cmp_ne_u32_e32 vcc, 0, v1
	v_cndmask_b32_e64 v1, v12, v10, s[2:3]
	s_nop 0
	v_cndmask_b32_e32 v49, v9, v5, vcc
	v_cndmask_b32_e32 v48, v8, v1, vcc
.LBB0_4:                                ;   in Loop: Header=BB0_2 Depth=1
	s_andn2_saveexec_b64 s[2:3], s[26:27]
	s_cbranch_execz .LBB0_6
; %bb.5:                                ;   in Loop: Header=BB0_2 Depth=1
	v_cvt_f32_u32_e32 v1, s24
	s_sub_i32 s26, 0, s24
	v_mov_b32_e32 v49, v4
	v_rcp_iflag_f32_e32 v1, v1
	s_nop 0
	v_mul_f32_e32 v1, 0x4f7ffffe, v1
	v_cvt_u32_f32_e32 v1, v1
	v_mul_lo_u32 v5, s26, v1
	v_mul_hi_u32 v5, v1, v5
	v_add_u32_e32 v1, v1, v5
	v_mul_hi_u32 v1, v6, v1
	v_mul_lo_u32 v5, v1, s24
	v_sub_u32_e32 v5, v6, v5
	v_add_u32_e32 v8, 1, v1
	v_subrev_u32_e32 v9, s24, v5
	v_cmp_le_u32_e32 vcc, s24, v5
	s_nop 1
	v_cndmask_b32_e32 v5, v5, v9, vcc
	v_cndmask_b32_e32 v1, v1, v8, vcc
	v_add_u32_e32 v8, 1, v1
	v_cmp_le_u32_e32 vcc, s24, v5
	s_nop 1
	v_cndmask_b32_e32 v48, v1, v8, vcc
.LBB0_6:                                ;   in Loop: Header=BB0_2 Depth=1
	s_or_b64 exec, exec, s[2:3]
	v_mad_u64_u32 v[8:9], s[2:3], v48, s24, 0
	s_load_dwordx2 s[2:3], s[18:19], 0x0
	v_mul_lo_u32 v1, v49, s24
	v_mul_lo_u32 v5, v48, s25
	s_load_dwordx2 s[24:25], s[16:17], 0x0
	s_add_u32 s22, s22, 1
	v_add3_u32 v1, v9, v5, v1
	v_sub_co_u32_e32 v5, vcc, v6, v8
	s_addc_u32 s23, s23, 0
	s_nop 0
	v_subb_co_u32_e32 v1, vcc, v7, v1, vcc
	s_add_u32 s16, s16, 8
	s_waitcnt lgkmcnt(0)
	v_mul_lo_u32 v6, s2, v1
	v_mul_lo_u32 v7, s3, v5
	v_mad_u64_u32 v[2:3], s[2:3], s2, v5, v[2:3]
	s_addc_u32 s17, s17, 0
	v_add3_u32 v3, v7, v3, v6
	v_mul_lo_u32 v1, s24, v1
	v_mul_lo_u32 v6, s25, v5
	v_mad_u64_u32 v[44:45], s[2:3], s24, v5, v[44:45]
	s_add_u32 s18, s18, 8
	v_add3_u32 v45, v6, v45, v1
	s_addc_u32 s19, s19, 0
	v_mov_b64_e32 v[6:7], s[10:11]
	s_add_u32 s20, s20, 8
	v_cmp_ge_u64_e32 vcc, s[22:23], v[6:7]
	s_addc_u32 s21, s21, 0
	s_cbranch_vccnz .LBB0_9
; %bb.7:                                ;   in Loop: Header=BB0_2 Depth=1
	v_mov_b64_e32 v[6:7], v[48:49]
	s_branch .LBB0_2
.LBB0_8:
	v_mov_b64_e32 v[44:45], v[2:3]
	v_mov_b64_e32 v[48:49], v[6:7]
.LBB0_9:
	s_load_dwordx2 s[18:19], s[0:1], 0x28
	s_lshl_b64 s[16:17], s[10:11], 3
	s_add_u32 s2, s14, s16
	s_addc_u32 s3, s15, s17
                                        ; implicit-def: $vgpr46
                                        ; implicit-def: $vgpr50
	s_waitcnt lgkmcnt(0)
	v_cmp_gt_u64_e64 s[0:1], s[18:19], v[48:49]
	v_cmp_le_u64_e32 vcc, s[18:19], v[48:49]
	s_and_saveexec_b64 s[10:11], vcc
	s_xor_b64 s[10:11], exec, s[10:11]
; %bb.10:
	s_mov_b32 s14, 0x253c826
	v_mul_hi_u32 v1, v0, s14
	v_mul_u32_u24_e32 v1, 0x6e, v1
	v_sub_u32_e32 v46, v0, v1
	v_add_u32_e32 v50, 0x6e, v46
                                        ; implicit-def: $vgpr0
                                        ; implicit-def: $vgpr2_vgpr3
; %bb.11:
	s_andn2_saveexec_b64 s[10:11], s[10:11]
	s_cbranch_execz .LBB0_13
; %bb.12:
	s_add_u32 s12, s12, s16
	s_addc_u32 s13, s13, s17
	s_load_dwordx2 s[12:13], s[12:13], 0x0
	s_mov_b32 s14, 0x253c826
	s_waitcnt lgkmcnt(0)
	v_mul_lo_u32 v1, s13, v48
	v_mul_lo_u32 v6, s12, v49
	v_mad_u64_u32 v[4:5], s[12:13], s12, v48, 0
	v_add3_u32 v5, v5, v6, v1
	v_mul_hi_u32 v1, v0, s14
	v_mul_u32_u24_e32 v1, 0x6e, v1
	v_sub_u32_e32 v46, v0, v1
	v_lshl_add_u64 v[0:1], v[4:5], 3, s[4:5]
	v_lshl_add_u64 v[0:1], v[2:3], 3, v[0:1]
	v_lshlrev_b32_e32 v2, 3, v46
	v_mov_b32_e32 v3, 0
	v_lshl_add_u64 v[0:1], v[0:1], 0, v[2:3]
	s_movk_i32 s4, 0x1000
	v_add_co_u32_e32 v12, vcc, s4, v0
	s_movk_i32 s4, 0x2000
	s_nop 0
	v_addc_co_u32_e32 v13, vcc, 0, v1, vcc
	v_add_co_u32_e32 v22, vcc, s4, v0
	global_load_dwordx2 v[4:5], v[0:1], off
	global_load_dwordx2 v[6:7], v[0:1], off offset:880
	global_load_dwordx2 v[8:9], v[0:1], off offset:1760
	;; [unrolled: 1-line block ×3, first 2 shown]
	v_addc_co_u32_e32 v23, vcc, 0, v1, vcc
	global_load_dwordx2 v[14:15], v[0:1], off offset:3520
	global_load_dwordx2 v[16:17], v[12:13], off offset:304
	;; [unrolled: 1-line block ×4, first 2 shown]
	v_add_co_u32_e32 v0, vcc, 0x3000, v0
	global_load_dwordx2 v[24:25], v[12:13], off offset:2944
	global_load_dwordx2 v[26:27], v[12:13], off offset:3824
	global_load_dwordx2 v[28:29], v[22:23], off offset:608
	global_load_dwordx2 v[30:31], v[22:23], off offset:1488
	v_addc_co_u32_e32 v1, vcc, 0, v1, vcc
	global_load_dwordx2 v[12:13], v[22:23], off offset:2368
	global_load_dwordx2 v[32:33], v[22:23], off offset:3248
	;; [unrolled: 1-line block ×3, first 2 shown]
	v_add_u32_e32 v50, 0x6e, v46
	v_add_u32_e32 v0, 0, v2
	;; [unrolled: 1-line block ×8, first 2 shown]
	s_waitcnt vmcnt(13)
	ds_write2_b64 v0, v[4:5], v[6:7] offset1:110
	s_waitcnt vmcnt(11)
	ds_write2_b64 v1, v[8:9], v[10:11] offset0:92 offset1:202
	s_waitcnt vmcnt(9)
	ds_write2_b64 v2, v[14:15], v[16:17] offset0:56 offset1:166
	;; [unrolled: 2-line block ×6, first 2 shown]
	s_waitcnt vmcnt(0)
	ds_write_b64 v0, v[34:35] offset:12320
.LBB0_13:
	s_or_b64 exec, exec, s[10:11]
	v_lshl_add_u32 v116, v46, 3, 0
	v_add_u32_e32 v0, 0x400, v116
	s_load_dwordx2 s[4:5], s[2:3], 0x0
	s_waitcnt lgkmcnt(0)
	s_barrier
	ds_read2_b64 v[8:11], v0 offset0:22 offset1:132
	v_add_u32_e32 v0, 0x2c00, v116
	v_add_u32_e32 v12, 0x800, v116
	;; [unrolled: 1-line block ×3, first 2 shown]
	ds_read2_b64 v[4:7], v0 offset0:92 offset1:202
	ds_read2_b64 v[0:3], v116 offset1:110
	ds_read2_b64 v[12:15], v12 offset0:44 offset1:154
	ds_read2_b64 v[24:27], v24 offset0:70 offset1:180
	v_add_u32_e32 v16, 0xc00, v116
	v_add_u32_e32 v47, 0x2400, v116
	ds_read2_b64 v[16:19], v16 offset0:66 offset1:176
	ds_read2_b64 v[20:23], v47 offset0:48 offset1:158
	s_mov_b32 s16, 0xbf0a6770
	s_waitcnt lgkmcnt(5)
	v_pk_add_f32 v[74:75], v[8:9], v[4:5] neg_lo:[0,1] neg_hi:[0,1]
	s_mov_b32 s14, 0x3f575c64
	v_pk_add_f32 v[72:73], v[4:5], v[8:9]
	v_pk_mul_f32 v[28:29], v[74:75], s[16:17] op_sel_hi:[1,0]
	s_waitcnt lgkmcnt(2)
	v_pk_add_f32 v[78:79], v[12:13], v[24:25] neg_lo:[0,1] neg_hi:[0,1]
	s_mov_b32 s24, 0xbf68dda4
	s_mov_b32 s12, 0x3ed4b147
	v_pk_fma_f32 v[54:55], v[72:73], s[14:15], v[28:29] op_sel:[0,0,1] op_sel_hi:[1,0,0]
	v_pk_fma_f32 v[52:53], v[72:73], s[14:15], v[28:29] op_sel:[0,0,1] op_sel_hi:[1,0,0] neg_lo:[0,0,1] neg_hi:[0,0,1]
	v_pk_add_f32 v[76:77], v[24:25], v[12:13]
	v_pk_mul_f32 v[30:31], v[78:79], s[24:25] op_sel_hi:[1,0]
	v_mov_b32_e32 v28, v54
	v_mov_b32_e32 v29, v53
	v_pk_fma_f32 v[58:59], v[76:77], s[12:13], v[30:31] op_sel:[0,0,1] op_sel_hi:[1,0,0]
	v_pk_fma_f32 v[56:57], v[76:77], s[12:13], v[30:31] op_sel:[0,0,1] op_sel_hi:[1,0,0] neg_lo:[0,0,1] neg_hi:[0,0,1]
	s_mov_b32 s10, 0xbf7d64f0
	v_pk_add_f32 v[28:29], v[0:1], v[28:29]
	v_mov_b32_e32 v30, v58
	v_mov_b32_e32 v31, v57
	s_waitcnt lgkmcnt(0)
	v_pk_add_f32 v[82:83], v[16:17], v[20:21] neg_lo:[0,1] neg_hi:[0,1]
	s_mov_b32 s2, 0xbe11bafb
	v_pk_add_f32 v[36:37], v[30:31], v[28:29]
	v_pk_add_f32 v[80:81], v[20:21], v[16:17]
	v_pk_mul_f32 v[28:29], v[82:83], s[10:11] op_sel_hi:[1,0]
	v_add_u32_e32 v51, 0x2000, v116
	v_pk_fma_f32 v[60:61], v[80:81], s[2:3], v[28:29] op_sel:[0,0,1] op_sel_hi:[1,0,0]
	v_pk_fma_f32 v[62:63], v[80:81], s[2:3], v[28:29] op_sel:[0,0,1] op_sel_hi:[1,0,0] neg_lo:[0,0,1] neg_hi:[0,0,1]
	v_add_u32_e32 v28, 0x1000, v116
	ds_read2_b64 v[32:35], v28 offset0:88 offset1:198
	ds_read2_b64 v[28:31], v51 offset0:26 offset1:136
	v_mov_b32_e32 v38, v60
	v_mov_b32_e32 v39, v63
	s_mov_b32 s20, 0xbf4178ce
	v_pk_add_f32 v[68:69], v[38:39], v[36:37]
	s_waitcnt lgkmcnt(0)
	v_pk_add_f32 v[86:87], v[32:33], v[28:29] neg_lo:[0,1] neg_hi:[0,1]
	s_mov_b32 s18, 0xbf27a4f4
	v_pk_add_f32 v[84:85], v[28:29], v[32:33]
	v_pk_mul_f32 v[36:37], v[86:87], s[20:21] op_sel_hi:[1,0]
	v_add_u32_e32 v54, 0x1800, v116
	v_pk_fma_f32 v[64:65], v[84:85], s[18:19], v[36:37] op_sel:[0,0,1] op_sel_hi:[1,0,0]
	v_pk_fma_f32 v[66:67], v[84:85], s[18:19], v[36:37] op_sel:[0,0,1] op_sel_hi:[1,0,0] neg_lo:[0,0,1] neg_hi:[0,0,1]
	v_add_u32_e32 v36, 0x1400, v116
	ds_read2_b64 v[36:39], v36 offset0:110 offset1:220
	ds_read2_b64 v[40:43], v54 offset0:132 offset1:242
	v_pk_add_f32 v[8:9], v[0:1], v[8:9]
	v_mov_b32_e32 v70, v64
	v_pk_add_f32 v[8:9], v[8:9], v[12:13]
	v_mov_b32_e32 v71, v67
	v_pk_add_f32 v[8:9], v[8:9], v[16:17]
	s_mov_b32 s26, 0xbe903f40
	v_pk_add_f32 v[8:9], v[8:9], v[32:33]
	s_waitcnt lgkmcnt(0)
	v_pk_add_f32 v[92:93], v[36:37], v[40:41] neg_lo:[0,1] neg_hi:[0,1]
	v_pk_add_f32 v[8:9], v[8:9], v[36:37]
	v_pk_add_f32 v[88:89], v[70:71], v[68:69]
	;; [unrolled: 1-line block ×3, first 2 shown]
	s_mov_b32 s22, 0xbf75a155
	v_pk_add_f32 v[90:91], v[40:41], v[36:37]
	v_pk_mul_f32 v[70:71], v[92:93], s[26:27] op_sel_hi:[1,0]
	v_pk_add_f32 v[8:9], v[8:9], v[28:29]
	v_pk_fma_f32 v[68:69], v[90:91], s[22:23], v[70:71] op_sel:[0,0,1] op_sel_hi:[1,0,0]
	v_pk_fma_f32 v[70:71], v[90:91], s[22:23], v[70:71] op_sel:[0,0,1] op_sel_hi:[1,0,0] neg_lo:[0,0,1] neg_hi:[0,0,1]
	v_pk_add_f32 v[8:9], v[8:9], v[20:21]
	v_mov_b32_e32 v94, v68
	v_mov_b32_e32 v95, v71
	s_movk_i32 s3, 0x50
	v_pk_add_f32 v[8:9], v[8:9], v[24:25]
	v_pk_add_f32 v[88:89], v[94:95], v[88:89]
	;; [unrolled: 1-line block ×3, first 2 shown]
	v_mad_u32_u24 v58, v46, s3, v116
	s_barrier
	ds_write2_b64 v58, v[4:5], v[88:89] offset1:1
	v_pk_mul_f32 v[4:5], v[74:75], s[24:25] op_sel_hi:[1,0]
	v_pk_mul_f32 v[16:17], v[78:79], s[20:21] op_sel_hi:[1,0]
	v_pk_fma_f32 v[8:9], v[72:73], s[12:13], v[4:5] op_sel:[0,0,1] op_sel_hi:[1,0,0]
	v_pk_fma_f32 v[4:5], v[72:73], s[12:13], v[4:5] op_sel:[0,0,1] op_sel_hi:[1,0,0] neg_lo:[0,0,1] neg_hi:[0,0,1]
	v_mov_b32_e32 v12, v8
	v_mov_b32_e32 v13, v5
	v_pk_fma_f32 v[20:21], v[76:77], s[18:19], v[16:17] op_sel:[0,0,1] op_sel_hi:[1,0,0]
	v_pk_fma_f32 v[16:17], v[76:77], s[18:19], v[16:17] op_sel:[0,0,1] op_sel_hi:[1,0,0] neg_lo:[0,0,1] neg_hi:[0,0,1]
	v_pk_add_f32 v[12:13], v[0:1], v[12:13]
	v_mov_b32_e32 v24, v20
	v_mov_b32_e32 v25, v17
	s_mov_b32 s34, 0x3e903f40
	v_pk_add_f32 v[12:13], v[24:25], v[12:13]
	v_pk_mul_f32 v[24:25], v[82:83], s[34:35] op_sel_hi:[1,0]
	s_mov_b32 s36, 0x3f7d64f0
	v_pk_fma_f32 v[28:29], v[80:81], s[22:23], v[24:25] op_sel:[0,0,1] op_sel_hi:[1,0,0]
	v_pk_fma_f32 v[24:25], v[80:81], s[22:23], v[24:25] op_sel:[0,0,1] op_sel_hi:[1,0,0] neg_lo:[0,0,1] neg_hi:[0,0,1]
	v_mov_b32_e32 v32, v28
	v_mov_b32_e32 v33, v25
	v_pk_add_f32 v[12:13], v[32:33], v[12:13]
	v_pk_mul_f32 v[32:33], v[86:87], s[36:37] op_sel_hi:[1,0]
	s_mov_b32 s28, 0x3f0a6770
	v_pk_fma_f32 v[36:37], v[84:85], s[2:3], v[32:33] op_sel:[0,0,1] op_sel_hi:[1,0,0]
	v_pk_fma_f32 v[32:33], v[84:85], s[2:3], v[32:33] op_sel:[0,0,1] op_sel_hi:[1,0,0] neg_lo:[0,0,1] neg_hi:[0,0,1]
	v_mov_b32_e32 v40, v36
	v_mov_b32_e32 v41, v33
	v_pk_add_f32 v[12:13], v[40:41], v[12:13]
	v_pk_mul_f32 v[40:41], v[92:93], s[28:29] op_sel_hi:[1,0]
	v_pk_mul_f32 v[100:101], v[78:79], s[34:35] op_sel_hi:[1,0]
	v_pk_fma_f32 v[88:89], v[90:91], s[14:15], v[40:41] op_sel:[0,0,1] op_sel_hi:[1,0,0]
	v_pk_fma_f32 v[40:41], v[90:91], s[14:15], v[40:41] op_sel:[0,0,1] op_sel_hi:[1,0,0] neg_lo:[0,0,1] neg_hi:[0,0,1]
	v_mov_b32_e32 v94, v88
	v_mov_b32_e32 v95, v41
	v_pk_add_f32 v[12:13], v[94:95], v[12:13]
	v_pk_mul_f32 v[94:95], v[74:75], s[10:11] op_sel_hi:[1,0]
	v_pk_fma_f32 v[102:103], v[76:77], s[22:23], v[100:101] op_sel:[0,0,1] op_sel_hi:[1,0,0]
	v_pk_fma_f32 v[96:97], v[72:73], s[2:3], v[94:95] op_sel:[0,0,1] op_sel_hi:[1,0,0]
	v_pk_fma_f32 v[94:95], v[72:73], s[2:3], v[94:95] op_sel:[0,0,1] op_sel_hi:[1,0,0] neg_lo:[0,0,1] neg_hi:[0,0,1]
	v_mov_b32_e32 v98, v96
	v_mov_b32_e32 v99, v95
	v_pk_fma_f32 v[100:101], v[76:77], s[22:23], v[100:101] op_sel:[0,0,1] op_sel_hi:[1,0,0] neg_lo:[0,0,1] neg_hi:[0,0,1]
	v_pk_add_f32 v[98:99], v[0:1], v[98:99]
	v_mov_b32_e32 v104, v102
	v_mov_b32_e32 v105, v101
	s_mov_b32 s30, 0x3f68dda4
	v_pk_add_f32 v[98:99], v[104:105], v[98:99]
	v_pk_mul_f32 v[104:105], v[82:83], s[30:31] op_sel_hi:[1,0]
	v_pk_mul_f32 v[120:121], v[78:79], s[36:37] op_sel_hi:[1,0]
	v_pk_fma_f32 v[106:107], v[80:81], s[12:13], v[104:105] op_sel:[0,0,1] op_sel_hi:[1,0,0]
	v_pk_fma_f32 v[104:105], v[80:81], s[12:13], v[104:105] op_sel:[0,0,1] op_sel_hi:[1,0,0] neg_lo:[0,0,1] neg_hi:[0,0,1]
	v_mov_b32_e32 v108, v106
	v_mov_b32_e32 v109, v105
	v_pk_add_f32 v[98:99], v[108:109], v[98:99]
	v_pk_mul_f32 v[108:109], v[86:87], s[16:17] op_sel_hi:[1,0]
	v_pk_fma_f32 v[122:123], v[76:77], s[2:3], v[120:121] op_sel:[0,0,1] op_sel_hi:[1,0,0]
	v_pk_fma_f32 v[110:111], v[84:85], s[14:15], v[108:109] op_sel:[0,0,1] op_sel_hi:[1,0,0]
	v_pk_fma_f32 v[108:109], v[84:85], s[14:15], v[108:109] op_sel:[0,0,1] op_sel_hi:[1,0,0] neg_lo:[0,0,1] neg_hi:[0,0,1]
	v_mov_b32_e32 v112, v110
	v_mov_b32_e32 v113, v109
	v_pk_add_f32 v[98:99], v[112:113], v[98:99]
	v_pk_mul_f32 v[112:113], v[92:93], s[20:21] op_sel_hi:[1,0]
	v_pk_fma_f32 v[120:121], v[76:77], s[2:3], v[120:121] op_sel:[0,0,1] op_sel_hi:[1,0,0] neg_lo:[0,0,1] neg_hi:[0,0,1]
	v_pk_fma_f32 v[114:115], v[90:91], s[18:19], v[112:113] op_sel:[0,0,1] op_sel_hi:[1,0,0]
	v_pk_fma_f32 v[112:113], v[90:91], s[18:19], v[112:113] op_sel:[0,0,1] op_sel_hi:[1,0,0] neg_lo:[0,0,1] neg_hi:[0,0,1]
	v_mov_b32_e32 v118, v114
	v_mov_b32_e32 v119, v113
	v_pk_add_f32 v[98:99], v[118:119], v[98:99]
	ds_write2_b64 v58, v[12:13], v[98:99] offset0:2 offset1:3
	v_pk_mul_f32 v[12:13], v[74:75], s[20:21] op_sel_hi:[1,0]
	v_mov_b32_e32 v124, v122
	v_pk_fma_f32 v[98:99], v[72:73], s[18:19], v[12:13] op_sel:[0,0,1] op_sel_hi:[1,0,0]
	v_pk_fma_f32 v[12:13], v[72:73], s[18:19], v[12:13] op_sel:[0,0,1] op_sel_hi:[1,0,0] neg_lo:[0,0,1] neg_hi:[0,0,1]
	v_mov_b32_e32 v118, v98
	v_mov_b32_e32 v119, v13
	v_pk_add_f32 v[118:119], v[0:1], v[118:119]
	v_mov_b32_e32 v125, v121
	v_pk_add_f32 v[118:119], v[124:125], v[118:119]
	v_pk_mul_f32 v[124:125], v[82:83], s[16:17] op_sel_hi:[1,0]
	v_pk_mul_f32 v[74:75], v[74:75], s[26:27] op_sel_hi:[1,0]
	v_pk_fma_f32 v[126:127], v[80:81], s[14:15], v[124:125] op_sel:[0,0,1] op_sel_hi:[1,0,0]
	v_pk_fma_f32 v[124:125], v[80:81], s[14:15], v[124:125] op_sel:[0,0,1] op_sel_hi:[1,0,0] neg_lo:[0,0,1] neg_hi:[0,0,1]
	v_mov_b32_e32 v128, v126
	v_mov_b32_e32 v129, v125
	v_pk_add_f32 v[118:119], v[128:129], v[118:119]
	v_pk_mul_f32 v[128:129], v[86:87], s[26:27] op_sel_hi:[1,0]
	v_pk_mul_f32 v[82:83], v[82:83], s[20:21] op_sel_hi:[1,0]
	v_pk_fma_f32 v[130:131], v[84:85], s[22:23], v[128:129] op_sel:[0,0,1] op_sel_hi:[1,0,0]
	v_pk_fma_f32 v[128:129], v[84:85], s[22:23], v[128:129] op_sel:[0,0,1] op_sel_hi:[1,0,0] neg_lo:[0,0,1] neg_hi:[0,0,1]
	v_mov_b32_e32 v132, v130
	v_mov_b32_e32 v133, v129
	v_pk_add_f32 v[118:119], v[132:133], v[118:119]
	v_pk_mul_f32 v[132:133], v[92:93], s[30:31] op_sel_hi:[1,0]
	v_mov_b32_e32 v13, v99
	v_pk_fma_f32 v[134:135], v[90:91], s[12:13], v[132:133] op_sel:[0,0,1] op_sel_hi:[1,0,0]
	v_pk_fma_f32 v[132:133], v[90:91], s[12:13], v[132:133] op_sel:[0,0,1] op_sel_hi:[1,0,0] neg_lo:[0,0,1] neg_hi:[0,0,1]
	v_mov_b32_e32 v136, v134
	v_mov_b32_e32 v137, v133
	v_pk_add_f32 v[118:119], v[136:137], v[118:119]
	v_pk_fma_f32 v[136:137], v[72:73], s[22:23], v[74:75] op_sel:[0,0,1] op_sel_hi:[1,0,0]
	v_pk_fma_f32 v[72:73], v[72:73], s[22:23], v[74:75] op_sel:[0,0,1] op_sel_hi:[1,0,0] neg_lo:[0,0,1] neg_hi:[0,0,1]
	v_pk_mul_f32 v[74:75], v[78:79], s[28:29] op_sel_hi:[1,0]
	v_mov_b32_e32 v121, v123
	v_pk_fma_f32 v[78:79], v[76:77], s[14:15], v[74:75] op_sel:[0,0,1] op_sel_hi:[1,0,0]
	v_pk_fma_f32 v[74:75], v[76:77], s[14:15], v[74:75] op_sel:[0,0,1] op_sel_hi:[1,0,0] neg_lo:[0,0,1] neg_hi:[0,0,1]
	v_mov_b32_e32 v76, v136
	v_mov_b32_e32 v77, v73
	v_pk_add_f32 v[76:77], v[0:1], v[76:77]
	v_mov_b32_e32 v138, v78
	v_mov_b32_e32 v139, v75
	v_pk_add_f32 v[76:77], v[138:139], v[76:77]
	v_pk_fma_f32 v[138:139], v[80:81], s[18:19], v[82:83] op_sel:[0,0,1] op_sel_hi:[1,0,0]
	v_pk_fma_f32 v[80:81], v[80:81], s[18:19], v[82:83] op_sel:[0,0,1] op_sel_hi:[1,0,0] neg_lo:[0,0,1] neg_hi:[0,0,1]
	v_mov_b32_e32 v82, v138
	v_mov_b32_e32 v83, v81
	v_pk_add_f32 v[76:77], v[82:83], v[76:77]
	v_pk_mul_f32 v[82:83], v[86:87], s[30:31] op_sel_hi:[1,0]
	v_mov_b32_e32 v73, v137
	v_pk_fma_f32 v[86:87], v[84:85], s[12:13], v[82:83] op_sel:[0,0,1] op_sel_hi:[1,0,0]
	v_pk_fma_f32 v[82:83], v[84:85], s[12:13], v[82:83] op_sel:[0,0,1] op_sel_hi:[1,0,0] neg_lo:[0,0,1] neg_hi:[0,0,1]
	v_mov_b32_e32 v84, v86
	v_mov_b32_e32 v85, v83
	;; [unrolled: 1-line block ×3, first 2 shown]
	v_pk_add_f32 v[72:73], v[0:1], v[72:73]
	v_pk_add_f32 v[12:13], v[0:1], v[12:13]
	;; [unrolled: 1-line block ×3, first 2 shown]
	v_pk_mul_f32 v[84:85], v[92:93], s[10:11] op_sel_hi:[1,0]
	v_pk_add_f32 v[72:73], v[74:75], v[72:73]
	v_mov_b32_e32 v81, v139
	v_pk_add_f32 v[12:13], v[120:121], v[12:13]
	v_mov_b32_e32 v125, v127
	v_pk_fma_f32 v[92:93], v[90:91], s[2:3], v[84:85] op_sel:[0,0,1] op_sel_hi:[1,0,0]
	v_pk_fma_f32 v[84:85], v[90:91], s[2:3], v[84:85] op_sel:[0,0,1] op_sel_hi:[1,0,0] neg_lo:[0,0,1] neg_hi:[0,0,1]
	v_pk_add_f32 v[72:73], v[80:81], v[72:73]
	v_mov_b32_e32 v83, v87
	v_pk_add_f32 v[12:13], v[124:125], v[12:13]
	v_mov_b32_e32 v129, v131
	v_mov_b32_e32 v91, v85
	v_pk_add_f32 v[72:73], v[82:83], v[72:73]
	v_mov_b32_e32 v85, v93
	v_pk_add_f32 v[12:13], v[128:129], v[12:13]
	;; [unrolled: 2-line block ×3, first 2 shown]
	v_pk_add_f32 v[12:13], v[132:133], v[12:13]
	v_mov_b32_e32 v95, v97
	v_mov_b32_e32 v5, v9
	ds_write2_b64 v58, v[72:73], v[12:13] offset0:6 offset1:7
	v_mov_b32_e32 v101, v103
	v_pk_add_f32 v[12:13], v[0:1], v[94:95]
	v_mov_b32_e32 v17, v21
	v_pk_add_f32 v[4:5], v[0:1], v[4:5]
	v_pk_add_f32 v[12:13], v[100:101], v[12:13]
	v_mov_b32_e32 v105, v107
	v_pk_add_f32 v[4:5], v[16:17], v[4:5]
	v_mov_b32_e32 v25, v29
	;; [unrolled: 2-line block ×6, first 2 shown]
	v_pk_add_f32 v[100:101], v[10:11], v[6:7] neg_lo:[0,1] neg_hi:[0,1]
	v_pk_add_f32 v[12:13], v[112:113], v[12:13]
	v_pk_add_f32 v[4:5], v[40:41], v[4:5]
	;; [unrolled: 1-line block ×3, first 2 shown]
	v_pk_mul_f32 v[8:9], v[100:101], s[10:11] op_sel_hi:[1,0]
	ds_write2_b64 v58, v[12:13], v[4:5] offset0:8 offset1:9
	v_pk_fma_f32 v[4:5], v[96:97], s[2:3], v[8:9] op_sel:[0,0,1] op_sel_hi:[1,0,0]
	v_pk_fma_f32 v[8:9], v[96:97], s[2:3], v[8:9] op_sel:[0,0,1] op_sel_hi:[1,0,0] neg_lo:[0,0,1] neg_hi:[0,0,1]
	v_pk_add_f32 v[104:105], v[14:15], v[26:27] neg_lo:[0,1] neg_hi:[0,1]
	v_mov_b32_e32 v12, v4
	v_mov_b32_e32 v13, v9
	v_pk_add_f32 v[98:99], v[26:27], v[14:15]
	v_pk_mul_f32 v[16:17], v[104:105], s[34:35] op_sel_hi:[1,0]
	v_pk_add_f32 v[20:21], v[2:3], v[12:13]
	v_pk_fma_f32 v[12:13], v[98:99], s[22:23], v[16:17] op_sel:[0,0,1] op_sel_hi:[1,0,0]
	v_pk_fma_f32 v[16:17], v[98:99], s[22:23], v[16:17] op_sel:[0,0,1] op_sel_hi:[1,0,0] neg_lo:[0,0,1] neg_hi:[0,0,1]
	v_pk_add_f32 v[108:109], v[18:19], v[22:23] neg_lo:[0,1] neg_hi:[0,1]
	v_mov_b32_e32 v24, v12
	v_mov_b32_e32 v25, v17
	v_pk_add_f32 v[102:103], v[22:23], v[18:19]
	v_pk_mul_f32 v[28:29], v[108:109], s[30:31] op_sel_hi:[1,0]
	v_pk_add_f32 v[24:25], v[24:25], v[20:21]
	v_pk_fma_f32 v[20:21], v[102:103], s[12:13], v[28:29] op_sel:[0,0,1] op_sel_hi:[1,0,0]
	v_pk_fma_f32 v[32:33], v[102:103], s[12:13], v[28:29] op_sel:[0,0,1] op_sel_hi:[1,0,0] neg_lo:[0,0,1] neg_hi:[0,0,1]
	v_mov_b32_e32 v28, v20
	v_mov_b32_e32 v29, v33
	v_pk_add_f32 v[112:113], v[34:35], v[30:31] neg_lo:[0,1] neg_hi:[0,1]
	v_pk_add_f32 v[24:25], v[28:29], v[24:25]
	v_pk_add_f32 v[106:107], v[30:31], v[34:35]
	v_pk_mul_f32 v[28:29], v[112:113], s[16:17] op_sel_hi:[1,0]
	v_pk_add_f32 v[114:115], v[38:39], v[42:43] neg_lo:[0,1] neg_hi:[0,1]
	v_pk_fma_f32 v[36:37], v[106:107], s[14:15], v[28:29] op_sel:[0,0,1] op_sel_hi:[1,0,0]
	v_pk_fma_f32 v[40:41], v[106:107], s[14:15], v[28:29] op_sel:[0,0,1] op_sel_hi:[1,0,0] neg_lo:[0,0,1] neg_hi:[0,0,1]
	v_mov_b32_e32 v28, v36
	v_mov_b32_e32 v29, v41
	v_pk_add_f32 v[24:25], v[28:29], v[24:25]
	v_pk_add_f32 v[110:111], v[42:43], v[38:39]
	v_pk_mul_f32 v[28:29], v[114:115], s[20:21] op_sel_hi:[1,0]
	v_mov_b32_e32 v90, v92
	v_pk_fma_f32 v[72:73], v[110:111], s[18:19], v[28:29] op_sel:[0,0,1] op_sel_hi:[1,0,0]
	v_pk_fma_f32 v[74:75], v[110:111], s[18:19], v[28:29] op_sel:[0,0,1] op_sel_hi:[1,0,0] neg_lo:[0,0,1] neg_hi:[0,0,1]
	v_mov_b32_e32 v28, v72
	v_mov_b32_e32 v29, v75
	v_pk_add_f32 v[76:77], v[90:91], v[76:77]
	v_pk_add_f32 v[24:25], v[28:29], v[24:25]
	v_pk_mul_f32 v[28:29], v[100:101], s[20:21] op_sel_hi:[1,0]
	ds_write2_b64 v58, v[118:119], v[76:77] offset0:4 offset1:5
	v_pk_fma_f32 v[76:77], v[96:97], s[18:19], v[28:29] op_sel:[0,0,1] op_sel_hi:[1,0,0] neg_lo:[0,0,1] neg_hi:[0,0,1]
	v_pk_fma_f32 v[78:79], v[96:97], s[18:19], v[28:29] op_sel:[0,0,1] op_sel_hi:[1,0,0]
	v_pk_mul_f32 v[82:83], v[104:105], s[36:37] op_sel_hi:[1,0]
	v_mov_b32_e32 v28, v78
	v_mov_b32_e32 v29, v77
	v_pk_fma_f32 v[80:81], v[98:99], s[2:3], v[82:83] op_sel:[0,0,1] op_sel_hi:[1,0,0] neg_lo:[0,0,1] neg_hi:[0,0,1]
	v_pk_fma_f32 v[82:83], v[98:99], s[2:3], v[82:83] op_sel:[0,0,1] op_sel_hi:[1,0,0]
	v_pk_add_f32 v[28:29], v[2:3], v[28:29]
	v_mov_b32_e32 v84, v82
	v_mov_b32_e32 v85, v81
	v_pk_mul_f32 v[86:87], v[108:109], s[16:17] op_sel_hi:[1,0]
	v_pk_add_f32 v[28:29], v[84:85], v[28:29]
	v_pk_fma_f32 v[84:85], v[102:103], s[14:15], v[86:87] op_sel:[0,0,1] op_sel_hi:[1,0,0] neg_lo:[0,0,1] neg_hi:[0,0,1]
	v_pk_fma_f32 v[86:87], v[102:103], s[14:15], v[86:87] op_sel:[0,0,1] op_sel_hi:[1,0,0]
	v_mov_b32_e32 v89, v85
	v_mov_b32_e32 v88, v86
	v_pk_mul_f32 v[90:91], v[112:113], s[26:27] op_sel_hi:[1,0]
	v_mov_b32_e32 v53, v55
	v_pk_add_f32 v[28:29], v[88:89], v[28:29]
	v_pk_fma_f32 v[88:89], v[106:107], s[22:23], v[90:91] op_sel:[0,0,1] op_sel_hi:[1,0,0] neg_lo:[0,0,1] neg_hi:[0,0,1]
	v_pk_fma_f32 v[90:91], v[106:107], s[22:23], v[90:91] op_sel:[0,0,1] op_sel_hi:[1,0,0]
	v_mov_b32_e32 v57, v59
	v_pk_add_f32 v[0:1], v[0:1], v[52:53]
	v_mov_b32_e32 v92, v90
	v_mov_b32_e32 v93, v89
	v_pk_mul_f32 v[94:95], v[114:115], s[30:31] op_sel_hi:[1,0]
	v_pk_add_f32 v[0:1], v[56:57], v[0:1]
	v_mov_b32_e32 v63, v61
	v_pk_add_f32 v[28:29], v[92:93], v[28:29]
	v_pk_fma_f32 v[92:93], v[110:111], s[12:13], v[94:95] op_sel:[0,0,1] op_sel_hi:[1,0,0] neg_lo:[0,0,1] neg_hi:[0,0,1]
	v_pk_fma_f32 v[94:95], v[110:111], s[12:13], v[94:95] op_sel:[0,0,1] op_sel_hi:[1,0,0]
	v_pk_add_f32 v[0:1], v[62:63], v[0:1]
	v_mov_b32_e32 v67, v65
	v_mov_b32_e32 v118, v94
	;; [unrolled: 1-line block ×3, first 2 shown]
	v_pk_add_f32 v[0:1], v[66:67], v[0:1]
	v_mov_b32_e32 v71, v69
	v_pk_add_f32 v[28:29], v[118:119], v[28:29]
	v_pk_add_f32 v[0:1], v[70:71], v[0:1]
	v_cmp_gt_u32_e32 vcc, 40, v46
	ds_write_b64 v58, v[0:1] offset:80
	s_and_saveexec_b64 s[38:39], vcc
	s_cbranch_execz .LBB0_15
; %bb.14:
	v_pk_add_f32 v[0:1], v[2:3], v[10:11]
	s_movk_i32 s3, 0x58
	v_pk_add_f32 v[0:1], v[0:1], v[14:15]
	v_mad_i32_i24 v12, v50, s3, 0
	v_pk_add_f32 v[0:1], v[0:1], v[18:19]
	v_pk_mul_f32 v[18:19], v[104:105], s[24:25] op_sel_hi:[1,0]
	v_pk_add_f32 v[0:1], v[0:1], v[34:35]
	v_pk_mul_f32 v[60:61], v[104:105], s[20:21] op_sel_hi:[1,0]
	v_pk_add_f32 v[0:1], v[0:1], v[38:39]
	v_pk_fma_f32 v[62:63], v[98:99], s[18:19], v[60:61] op_sel:[0,0,1] op_sel_hi:[1,0,0]
	v_pk_add_f32 v[0:1], v[0:1], v[42:43]
	v_pk_fma_f32 v[60:61], v[98:99], s[18:19], v[60:61] op_sel:[0,0,1] op_sel_hi:[1,0,0] neg_lo:[0,0,1] neg_hi:[0,0,1]
	v_pk_add_f32 v[0:1], v[0:1], v[30:31]
	v_mov_b32_e32 v64, v62
	v_pk_add_f32 v[0:1], v[0:1], v[22:23]
	v_pk_fma_f32 v[22:23], v[98:99], s[12:13], v[18:19] op_sel:[0,0,1] op_sel_hi:[1,0,0]
	v_pk_add_f32 v[0:1], v[0:1], v[26:27]
	v_pk_fma_f32 v[18:19], v[98:99], s[12:13], v[18:19] op_sel:[0,0,1] op_sel_hi:[1,0,0] neg_lo:[0,0,1] neg_hi:[0,0,1]
	v_pk_add_f32 v[0:1], v[0:1], v[6:7]
	v_pk_mul_f32 v[6:7], v[100:101], s[16:17] op_sel_hi:[1,0]
	v_mov_b32_e32 v26, v22
	v_pk_fma_f32 v[10:11], v[96:97], s[14:15], v[6:7] op_sel:[0,0,1] op_sel_hi:[1,0,0]
	v_pk_fma_f32 v[6:7], v[96:97], s[14:15], v[6:7] op_sel:[0,0,1] op_sel_hi:[1,0,0] neg_lo:[0,0,1] neg_hi:[0,0,1]
	v_mov_b32_e32 v14, v10
	v_mov_b32_e32 v15, v7
	v_pk_add_f32 v[14:15], v[2:3], v[14:15]
	v_mov_b32_e32 v27, v19
	v_pk_add_f32 v[14:15], v[26:27], v[14:15]
	v_pk_mul_f32 v[26:27], v[108:109], s[10:11] op_sel_hi:[1,0]
	v_mov_b32_e32 v65, v61
	v_pk_fma_f32 v[30:31], v[102:103], s[2:3], v[26:27] op_sel:[0,0,1] op_sel_hi:[1,0,0]
	v_pk_fma_f32 v[26:27], v[102:103], s[2:3], v[26:27] op_sel:[0,0,1] op_sel_hi:[1,0,0] neg_lo:[0,0,1] neg_hi:[0,0,1]
	v_mov_b32_e32 v34, v30
	v_mov_b32_e32 v35, v27
	v_pk_add_f32 v[14:15], v[34:35], v[14:15]
	v_pk_mul_f32 v[34:35], v[112:113], s[20:21] op_sel_hi:[1,0]
	v_pk_mul_f32 v[104:105], v[104:105], s[28:29] op_sel_hi:[1,0]
	v_pk_fma_f32 v[38:39], v[106:107], s[18:19], v[34:35] op_sel:[0,0,1] op_sel_hi:[1,0,0]
	v_pk_fma_f32 v[34:35], v[106:107], s[18:19], v[34:35] op_sel:[0,0,1] op_sel_hi:[1,0,0] neg_lo:[0,0,1] neg_hi:[0,0,1]
	v_mov_b32_e32 v42, v38
	v_mov_b32_e32 v43, v35
	v_pk_add_f32 v[14:15], v[42:43], v[14:15]
	v_pk_mul_f32 v[42:43], v[114:115], s[26:27] op_sel_hi:[1,0]
	v_mov_b32_e32 v9, v5
	v_pk_fma_f32 v[52:53], v[110:111], s[22:23], v[42:43] op_sel:[0,0,1] op_sel_hi:[1,0,0]
	v_pk_fma_f32 v[42:43], v[110:111], s[22:23], v[42:43] op_sel:[0,0,1] op_sel_hi:[1,0,0] neg_lo:[0,0,1] neg_hi:[0,0,1]
	v_mov_b32_e32 v56, v52
	v_mov_b32_e32 v57, v43
	v_pk_add_f32 v[14:15], v[56:57], v[14:15]
	ds_write2_b64 v12, v[0:1], v[14:15] offset1:1
	v_pk_mul_f32 v[0:1], v[100:101], s[24:25] op_sel_hi:[1,0]
	v_pk_add_f32 v[4:5], v[2:3], v[8:9]
	v_pk_fma_f32 v[14:15], v[96:97], s[12:13], v[0:1] op_sel:[0,0,1] op_sel_hi:[1,0,0]
	v_pk_fma_f32 v[0:1], v[96:97], s[12:13], v[0:1] op_sel:[0,0,1] op_sel_hi:[1,0,0] neg_lo:[0,0,1] neg_hi:[0,0,1]
	v_mov_b32_e32 v56, v14
	v_mov_b32_e32 v57, v1
	v_pk_add_f32 v[56:57], v[2:3], v[56:57]
	v_mov_b32_e32 v1, v15
	v_pk_add_f32 v[56:57], v[64:65], v[56:57]
	v_pk_mul_f32 v[64:65], v[108:109], s[34:35] op_sel_hi:[1,0]
	v_mov_b32_e32 v17, v13
	v_pk_fma_f32 v[66:67], v[102:103], s[22:23], v[64:65] op_sel:[0,0,1] op_sel_hi:[1,0,0]
	v_pk_fma_f32 v[64:65], v[102:103], s[22:23], v[64:65] op_sel:[0,0,1] op_sel_hi:[1,0,0] neg_lo:[0,0,1] neg_hi:[0,0,1]
	v_mov_b32_e32 v68, v66
	v_mov_b32_e32 v69, v65
	v_pk_add_f32 v[56:57], v[68:69], v[56:57]
	v_pk_mul_f32 v[68:69], v[112:113], s[36:37] op_sel_hi:[1,0]
	v_pk_add_f32 v[0:1], v[2:3], v[0:1]
	v_pk_fma_f32 v[70:71], v[106:107], s[2:3], v[68:69] op_sel:[0,0,1] op_sel_hi:[1,0,0]
	v_pk_fma_f32 v[68:69], v[106:107], s[2:3], v[68:69] op_sel:[0,0,1] op_sel_hi:[1,0,0] neg_lo:[0,0,1] neg_hi:[0,0,1]
	v_mov_b32_e32 v118, v70
	v_mov_b32_e32 v119, v69
	v_pk_add_f32 v[56:57], v[118:119], v[56:57]
	v_pk_mul_f32 v[118:119], v[114:115], s[28:29] op_sel_hi:[1,0]
	v_mov_b32_e32 v61, v63
	v_pk_fma_f32 v[120:121], v[110:111], s[14:15], v[118:119] op_sel:[0,0,1] op_sel_hi:[1,0,0]
	v_pk_fma_f32 v[118:119], v[110:111], s[14:15], v[118:119] op_sel:[0,0,1] op_sel_hi:[1,0,0] neg_lo:[0,0,1] neg_hi:[0,0,1]
	v_mov_b32_e32 v122, v120
	v_mov_b32_e32 v123, v119
	v_pk_add_f32 v[56:57], v[122:123], v[56:57]
	ds_write2_b64 v12, v[56:57], v[24:25] offset0:2 offset1:3
	v_pk_mul_f32 v[56:57], v[100:101], s[26:27] op_sel_hi:[1,0]
	v_pk_fma_f32 v[122:123], v[98:99], s[14:15], v[104:105] op_sel:[0,0,1] op_sel_hi:[1,0,0]
	v_pk_fma_f32 v[100:101], v[96:97], s[22:23], v[56:57] op_sel:[0,0,1] op_sel_hi:[1,0,0]
	v_pk_fma_f32 v[56:57], v[96:97], s[22:23], v[56:57] op_sel:[0,0,1] op_sel_hi:[1,0,0] neg_lo:[0,0,1] neg_hi:[0,0,1]
	v_mov_b32_e32 v96, v100
	v_mov_b32_e32 v97, v57
	v_pk_fma_f32 v[98:99], v[98:99], s[14:15], v[104:105] op_sel:[0,0,1] op_sel_hi:[1,0,0] neg_lo:[0,0,1] neg_hi:[0,0,1]
	v_pk_add_f32 v[96:97], v[2:3], v[96:97]
	v_mov_b32_e32 v104, v122
	v_mov_b32_e32 v105, v99
	v_pk_add_f32 v[96:97], v[104:105], v[96:97]
	v_pk_mul_f32 v[104:105], v[108:109], s[20:21] op_sel_hi:[1,0]
	v_pk_add_f32 v[4:5], v[16:17], v[4:5]
	v_pk_fma_f32 v[108:109], v[102:103], s[18:19], v[104:105] op_sel:[0,0,1] op_sel_hi:[1,0,0]
	v_pk_fma_f32 v[102:103], v[102:103], s[18:19], v[104:105] op_sel:[0,0,1] op_sel_hi:[1,0,0] neg_lo:[0,0,1] neg_hi:[0,0,1]
	v_mov_b32_e32 v33, v21
	v_pk_add_f32 v[0:1], v[60:61], v[0:1]
	v_mov_b32_e32 v65, v67
	v_mov_b32_e32 v104, v108
	;; [unrolled: 1-line block ×3, first 2 shown]
	v_pk_add_f32 v[4:5], v[32:33], v[4:5]
	v_mov_b32_e32 v41, v37
	v_pk_add_f32 v[0:1], v[64:65], v[0:1]
	v_mov_b32_e32 v69, v71
	v_pk_add_f32 v[96:97], v[104:105], v[96:97]
	v_pk_mul_f32 v[104:105], v[112:113], s[30:31] op_sel_hi:[1,0]
	v_pk_add_f32 v[4:5], v[40:41], v[4:5]
	v_mov_b32_e32 v75, v73
	v_pk_add_f32 v[0:1], v[68:69], v[0:1]
	v_mov_b32_e32 v119, v121
	v_pk_fma_f32 v[112:113], v[106:107], s[12:13], v[104:105] op_sel:[0,0,1] op_sel_hi:[1,0,0]
	v_pk_fma_f32 v[104:105], v[106:107], s[12:13], v[104:105] op_sel:[0,0,1] op_sel_hi:[1,0,0] neg_lo:[0,0,1] neg_hi:[0,0,1]
	v_mov_b32_e32 v57, v101
	v_mov_b32_e32 v77, v79
	v_pk_add_f32 v[4:5], v[74:75], v[4:5]
	v_pk_add_f32 v[0:1], v[118:119], v[0:1]
	v_mov_b32_e32 v7, v11
	v_mov_b32_e32 v106, v112
	v_mov_b32_e32 v107, v105
	v_pk_add_f32 v[56:57], v[2:3], v[56:57]
	v_mov_b32_e32 v99, v123
	v_pk_add_f32 v[76:77], v[2:3], v[76:77]
	v_mov_b32_e32 v81, v83
	ds_write2_b64 v12, v[4:5], v[0:1] offset0:8 offset1:9
	v_pk_add_f32 v[0:1], v[2:3], v[6:7]
	v_mov_b32_e32 v19, v23
	v_pk_add_f32 v[96:97], v[106:107], v[96:97]
	v_pk_mul_f32 v[106:107], v[114:115], s[10:11] op_sel_hi:[1,0]
	v_pk_add_f32 v[56:57], v[98:99], v[56:57]
	v_mov_b32_e32 v103, v109
	v_pk_add_f32 v[76:77], v[80:81], v[76:77]
	v_mov_b32_e32 v85, v87
	;; [unrolled: 2-line block ×3, first 2 shown]
	v_pk_fma_f32 v[114:115], v[110:111], s[2:3], v[106:107] op_sel:[0,0,1] op_sel_hi:[1,0,0]
	v_pk_fma_f32 v[106:107], v[110:111], s[2:3], v[106:107] op_sel:[0,0,1] op_sel_hi:[1,0,0] neg_lo:[0,0,1] neg_hi:[0,0,1]
	v_pk_add_f32 v[56:57], v[102:103], v[56:57]
	v_mov_b32_e32 v105, v113
	v_pk_add_f32 v[76:77], v[84:85], v[76:77]
	v_mov_b32_e32 v89, v91
	;; [unrolled: 2-line block ×3, first 2 shown]
	v_mov_b32_e32 v110, v114
	v_mov_b32_e32 v111, v107
	v_pk_add_f32 v[56:57], v[104:105], v[56:57]
	v_mov_b32_e32 v107, v115
	v_pk_add_f32 v[76:77], v[88:89], v[76:77]
	;; [unrolled: 2-line block ×4, first 2 shown]
	v_pk_add_f32 v[56:57], v[106:107], v[56:57]
	v_pk_add_f32 v[76:77], v[92:93], v[76:77]
	;; [unrolled: 1-line block ×3, first 2 shown]
	ds_write2_b64 v12, v[28:29], v[96:97] offset0:4 offset1:5
	ds_write2_b64 v12, v[56:57], v[76:77] offset0:6 offset1:7
	ds_write_b64 v12, v[0:1] offset:80
.LBB0_15:
	s_or_b64 exec, exec, s[38:39]
	v_add_u32_e32 v20, 0x14a, v46
	v_add_u32_e32 v22, 0xdc, v46
	s_waitcnt lgkmcnt(0)
	s_barrier
	ds_read_b64 v[26:27], v116
	ds_read2_b64 v[0:3], v54 offset0:57 offset1:167
	v_lshl_add_u32 v55, v22, 3, 0
	v_lshl_add_u32 v54, v20, 3, 0
	v_add_u32_e32 v12, 0x226, v46
	v_add_u32_e32 v18, 0x1b8, v46
	s_movk_i32 s2, 0xffb0
	v_lshl_add_u32 v56, v50, 3, 0
	ds_read_b64 v[30:31], v55
	ds_read2_b64 v[4:7], v51 offset0:21 offset1:131
	v_lshl_add_u32 v53, v18, 3, 0
	ds_read2_b64 v[8:11], v47 offset0:113 offset1:223
	v_lshl_add_u32 v52, v12, 3, 0
	v_mad_i32_i24 v13, v46, s2, v58
	ds_read_b64 v[34:35], v54
	ds_read_b64 v[36:37], v53
	;; [unrolled: 1-line block ×3, first 2 shown]
	ds_read_b64 v[40:41], v13 offset:5280
	ds_read_b64 v[32:33], v56
	ds_read_b64 v[42:43], v116 offset:11880
	v_mul_i32_i24_e32 v13, 0xffffffb0, v46
	v_cmp_gt_u32_e32 vcc, 55, v46
	v_add_u32_e32 v17, v58, v13
	s_and_saveexec_b64 s[2:3], vcc
	s_cbranch_execz .LBB0_17
; %bb.16:
	ds_read_b64 v[24:25], v17 offset:6160
	ds_read_b64 v[28:29], v116 offset:12760
.LBB0_17:
	s_or_b64 exec, exec, s[2:3]
	s_mov_b32 s11, 0xba2f
	v_mul_u32_u24_sdwa v16, v12, s11 dst_sel:DWORD dst_unused:UNUSED_PAD src0_sel:WORD_0 src1_sel:DWORD
	v_mul_u32_u24_sdwa v15, v18, s11 dst_sel:DWORD dst_unused:UNUSED_PAD src0_sel:WORD_0 src1_sel:DWORD
	v_lshrrev_b32_e32 v47, 19, v16
	v_lshrrev_b32_e32 v23, 19, v15
	v_mul_lo_u16_e32 v16, 11, v47
	v_add_u32_e32 v14, 0x294, v46
	v_mul_lo_u16_e32 v13, 11, v23
	v_sub_u16_e32 v16, v12, v16
	s_movk_i32 s2, 0x75
	v_sub_u16_e32 v13, v18, v13
	v_mul_u32_u24_sdwa v19, v14, s11 dst_sel:DWORD dst_unused:UNUSED_PAD src0_sel:WORD_0 src1_sel:DWORD
	v_lshlrev_b32_e32 v72, 3, v16
	v_mul_lo_u16_sdwa v16, v46, s2 dst_sel:DWORD dst_unused:UNUSED_PAD src0_sel:BYTE_0 src1_sel:DWORD
	v_lshrrev_b32_e32 v51, 19, v19
	v_lshlrev_b32_e32 v57, 3, v13
	v_sub_u16_sdwa v13, v46, v16 dst_sel:DWORD dst_unused:UNUSED_PAD src0_sel:DWORD src1_sel:BYTE_1
	v_mul_lo_u16_e32 v19, 11, v51
	v_lshrrev_b16_e32 v13, 1, v13
	v_sub_u16_e32 v19, v14, v19
	v_and_b32_e32 v70, 0x7f, v13
	v_mul_lo_u16_sdwa v13, v50, s2 dst_sel:DWORD dst_unused:UNUSED_PAD src0_sel:BYTE_0 src1_sel:DWORD
	v_lshlrev_b32_e32 v73, 3, v19
	v_sub_u16_sdwa v19, v50, v13 dst_sel:DWORD dst_unused:UNUSED_PAD src0_sel:DWORD src1_sel:BYTE_1
	v_lshrrev_b16_e32 v19, 1, v19
	v_mul_u32_u24_sdwa v21, v20, s11 dst_sel:DWORD dst_unused:UNUSED_PAD src0_sel:WORD_0 src1_sel:DWORD
	v_and_b32_e32 v19, 0x7f, v19
	v_lshrrev_b32_e32 v74, 19, v21
	v_add_u16_sdwa v13, v19, v13 dst_sel:DWORD dst_unused:UNUSED_PAD src0_sel:DWORD src1_sel:BYTE_1
	v_mul_lo_u16_e32 v19, 11, v74
	v_sub_u16_e32 v19, v20, v19
	v_lshlrev_b32_e32 v75, 3, v19
	v_mul_u32_u24_sdwa v19, v22, s11 dst_sel:DWORD dst_unused:UNUSED_PAD src0_sel:WORD_0 src1_sel:DWORD
	global_load_dwordx2 v[58:59], v73, s[8:9]
	global_load_dwordx2 v[60:61], v72, s[8:9]
	;; [unrolled: 1-line block ×3, first 2 shown]
	v_lshrrev_b32_e32 v76, 19, v19
	v_mul_lo_u16_e32 v66, 11, v76
	global_load_dwordx2 v[64:65], v75, s[8:9]
	v_sub_u16_e32 v66, v22, v66
	v_lshrrev_b16_e32 v78, 3, v13
	v_lshlrev_b32_e32 v77, 3, v66
	global_load_dwordx2 v[66:67], v77, s[8:9]
	v_mul_lo_u16_e32 v13, 11, v78
	v_add_u16_sdwa v16, v70, v16 dst_sel:DWORD dst_unused:UNUSED_PAD src0_sel:DWORD src1_sel:BYTE_1
	v_sub_u16_e32 v68, v50, v13
	v_mov_b32_e32 v13, 3
	v_lshrrev_b16_e32 v80, 3, v16
	v_lshlrev_b32_sdwa v79, v13, v68 dst_sel:DWORD dst_unused:UNUSED_PAD src0_sel:DWORD src1_sel:BYTE_0
	global_load_dwordx2 v[68:69], v79, s[8:9]
	v_mul_lo_u16_e32 v16, 11, v80
	v_sub_u16_e32 v16, v46, v16
	v_lshlrev_b32_sdwa v81, v13, v16 dst_sel:DWORD dst_unused:UNUSED_PAD src0_sel:DWORD src1_sel:BYTE_0
	global_load_dwordx2 v[70:71], v81, s[8:9]
	s_mov_b32 s10, 0x5040100
	s_movk_i32 s2, 0xb0
	v_perm_b32 v23, v47, v23, s10
	v_perm_b32 v74, v74, v76, s10
	v_pk_mul_lo_u16 v23, v23, s2 op_sel_hi:[1,0]
	v_mul_u32_u24_e32 v47, 0xb0, v51
	v_pk_mul_lo_u16 v51, v74, s2 op_sel_hi:[1,0]
	v_and_b32_e32 v76, 0xfff0, v23
	v_lshrrev_b32_e32 v23, 16, v23
	v_and_b32_e32 v74, 0xfff0, v51
	v_lshrrev_b32_e32 v51, 16, v51
	v_add3_u32 v23, 0, v23, v72
	v_add3_u32 v47, 0, v47, v73
	v_mul_u32_u24_e32 v72, 0xb0, v80
	v_mul_u32_u24_e32 v73, 0xb0, v78
	v_add3_u32 v82, 0, v74, v77
	v_add3_u32 v51, 0, v51, v75
	;; [unrolled: 1-line block ×5, first 2 shown]
	v_add_u32_e32 v16, 0x302, v46
	s_waitcnt lgkmcnt(0)
	s_barrier
	s_waitcnt vmcnt(6)
	v_pk_mul_f32 v[72:73], v[58:59], v[42:43] op_sel:[0,1]
	s_waitcnt vmcnt(5)
	v_pk_mul_f32 v[74:75], v[60:61], v[10:11] op_sel:[0,1]
	;; [unrolled: 2-line block ×3, first 2 shown]
	v_pk_fma_f32 v[78:79], v[58:59], v[42:43], v[72:73] op_sel:[0,0,1] op_sel_hi:[1,1,0]
	v_pk_fma_f32 v[42:43], v[58:59], v[42:43], v[72:73] op_sel:[0,0,1] op_sel_hi:[1,0,0] neg_lo:[1,0,0] neg_hi:[1,0,0]
	v_pk_fma_f32 v[58:59], v[60:61], v[10:11], v[74:75] op_sel:[0,0,1] op_sel_hi:[1,1,0]
	v_pk_fma_f32 v[10:11], v[60:61], v[10:11], v[74:75] op_sel:[0,0,1] op_sel_hi:[1,0,0] neg_lo:[1,0,0] neg_hi:[1,0,0]
	;; [unrolled: 2-line block ×3, first 2 shown]
	v_mov_b32_e32 v59, v11
	v_mov_b32_e32 v61, v9
	v_pk_add_f32 v[10:11], v[38:39], v[58:59] neg_lo:[0,1] neg_hi:[0,1]
	s_waitcnt vmcnt(3)
	v_pk_mul_f32 v[58:59], v[64:65], v[6:7] op_sel:[0,1]
	v_mov_b32_e32 v79, v43
	v_pk_add_f32 v[42:43], v[36:37], v[60:61] neg_lo:[0,1] neg_hi:[0,1]
	v_pk_fma_f32 v[60:61], v[64:65], v[6:7], v[58:59] op_sel:[0,0,1] op_sel_hi:[1,1,0]
	v_pk_fma_f32 v[6:7], v[64:65], v[6:7], v[58:59] op_sel:[0,0,1] op_sel_hi:[1,0,0] neg_lo:[1,0,0] neg_hi:[1,0,0]
	s_waitcnt vmcnt(2)
	v_pk_mul_f32 v[58:59], v[66:67], v[4:5] op_sel:[0,1]
	v_mov_b32_e32 v61, v7
	v_pk_add_f32 v[6:7], v[34:35], v[60:61] neg_lo:[0,1] neg_hi:[0,1]
	v_pk_fma_f32 v[60:61], v[66:67], v[4:5], v[58:59] op_sel:[0,0,1] op_sel_hi:[1,1,0]
	v_pk_fma_f32 v[4:5], v[66:67], v[4:5], v[58:59] op_sel:[0,0,1] op_sel_hi:[1,0,0] neg_lo:[1,0,0] neg_hi:[1,0,0]
	;; [unrolled: 6-line block ×4, first 2 shown]
	v_pk_add_f32 v[8:9], v[40:41], v[78:79] neg_lo:[0,1] neg_hi:[0,1]
	v_mov_b32_e32 v61, v1
	v_pk_add_f32 v[0:1], v[26:27], v[60:61] neg_lo:[0,1] neg_hi:[0,1]
	v_pk_fma_f32 v[40:41], v[40:41], 2.0, v[8:9] op_sel_hi:[1,0,1] neg_lo:[0,0,1] neg_hi:[0,0,1]
	v_pk_fma_f32 v[26:27], v[26:27], 2.0, v[0:1] op_sel_hi:[1,0,1] neg_lo:[0,0,1] neg_hi:[0,0,1]
	;; [unrolled: 1-line block ×7, first 2 shown]
	ds_write2_b64 v80, v[26:27], v[0:1] offset1:11
	ds_write2_b64 v81, v[32:33], v[2:3] offset1:11
	;; [unrolled: 1-line block ×7, first 2 shown]
	s_and_saveexec_b64 s[2:3], vcc
	s_cbranch_execz .LBB0_19
; %bb.18:
	v_mul_u32_u24_sdwa v0, v16, s11 dst_sel:DWORD dst_unused:UNUSED_PAD src0_sel:WORD_0 src1_sel:DWORD
	v_lshrrev_b32_e32 v2, 19, v0
	v_mul_lo_u16_e32 v0, 11, v2
	v_sub_u16_e32 v0, v16, v0
	v_lshlrev_b32_e32 v3, 3, v0
	global_load_dwordx2 v[0:1], v3, s[8:9]
	v_mul_lo_u16_e32 v2, 22, v2
	v_lshlrev_b32_e32 v2, 3, v2
	v_add3_u32 v6, 0, v3, v2
	s_waitcnt vmcnt(0)
	v_pk_mul_f32 v[2:3], v[28:29], v[0:1] op_sel:[1,0]
	s_nop 0
	v_pk_fma_f32 v[4:5], v[28:29], v[0:1], v[2:3] op_sel:[0,0,1] op_sel_hi:[1,1,0]
	v_pk_fma_f32 v[0:1], v[28:29], v[0:1], v[2:3] op_sel:[0,0,1] op_sel_hi:[0,1,0] neg_lo:[1,0,0] neg_hi:[1,0,0]
	v_mov_b32_e32 v5, v1
	v_pk_add_f32 v[0:1], v[24:25], v[4:5] neg_lo:[0,1] neg_hi:[0,1]
	s_nop 0
	v_pk_fma_f32 v[2:3], v[24:25], 2.0, v[0:1] op_sel_hi:[1,0,1] neg_lo:[0,0,1] neg_hi:[0,0,1]
	ds_write2_b64 v6, v[2:3], v[0:1] offset1:11
.LBB0_19:
	s_or_b64 exec, exec, s[2:3]
	v_lshrrev_b32_e32 v5, 20, v21
	v_mul_lo_u16_e32 v0, 22, v5
	v_lshrrev_b32_e32 v15, 20, v15
	v_sub_u16_e32 v21, v20, v0
	v_mul_lo_u16_e32 v0, 22, v15
	v_sub_u16_e32 v23, v18, v0
	v_lshlrev_b32_e32 v0, 4, v23
	v_mov_b32_e32 v1, 1
	s_waitcnt lgkmcnt(0)
	s_barrier
	global_load_dwordx4 v[6:9], v0, s[8:9] offset:88
	v_lshlrev_b32_e32 v0, 4, v21
	v_lshrrev_b32_e32 v19, 20, v19
	v_lshrrev_b16_sdwa v1, v1, v50 dst_sel:DWORD dst_unused:UNUSED_PAD src0_sel:DWORD src1_sel:BYTE_0
	global_load_dwordx4 v[24:27], v0, s[8:9] offset:88
	v_mul_lo_u16_e32 v0, 22, v19
	v_mul_lo_u16_e32 v1, 0xbb, v1
	v_sub_u16_e32 v47, v22, v0
	v_lshrrev_b16_e32 v51, 11, v1
	v_lshlrev_b32_e32 v0, 4, v47
	v_mul_lo_u16_e32 v1, 22, v51
	global_load_dwordx4 v[28:31], v0, s[8:9] offset:88
	v_mov_b32_e32 v0, 4
	v_sub_u16_e32 v57, v50, v1
	v_lshlrev_b32_sdwa v1, v0, v57 dst_sel:DWORD dst_unused:UNUSED_PAD src0_sel:DWORD src1_sel:BYTE_0
	global_load_dwordx4 v[32:35], v1, s[8:9] offset:88
	v_lshrrev_b16_e32 v1, 1, v46
	v_and_b32_e32 v1, 0x7f, v1
	v_mul_lo_u16_e32 v1, 0xbb, v1
	v_lshrrev_b16_e32 v80, 11, v1
	v_mul_lo_u16_e32 v1, 22, v80
	v_sub_u16_e32 v81, v46, v1
	v_lshlrev_b32_sdwa v0, v0, v81 dst_sel:DWORD dst_unused:UNUSED_PAD src0_sel:DWORD src1_sel:BYTE_0
	global_load_dwordx4 v[36:39], v0, s[8:9] offset:88
	v_add_u32_e32 v58, 0x1400, v116
	v_add_u32_e32 v3, 0x1800, v116
	;; [unrolled: 1-line block ×3, first 2 shown]
	s_movk_i32 s2, 0x210
	ds_read_b64 v[0:1], v52
	ds_read_b64 v[10:11], v53
	;; [unrolled: 1-line block ×3, first 2 shown]
	v_add_u32_e32 v4, 0x2800, v116
	ds_read_b64 v[72:73], v55
	ds_read_b64 v[74:75], v56
	ds_read_b64 v[76:77], v116 offset:12320
	ds_read_b64 v[78:79], v116
	ds_read2_b64 v[40:43], v2 offset0:76 offset1:186
	ds_read2_b64 v[58:61], v58 offset0:20 offset1:130
	v_perm_b32 v5, v5, v19, s10
	ds_read2_b64 v[62:65], v3 offset0:112 offset1:222
	ds_read2_b64 v[66:69], v4 offset0:40 offset1:150
	v_pk_mul_lo_u16 v5, v5, s2 op_sel_hi:[1,0]
	v_lshlrev_b32_e32 v21, 3, v21
	v_and_b32_e32 v19, 0xfff0, v5
	v_lshrrev_b32_e32 v5, 16, v5
	v_mul_u32_u24_e32 v80, 0x210, v80
	v_add3_u32 v5, 0, v5, v21
	v_lshlrev_b32_sdwa v21, v13, v81 dst_sel:DWORD dst_unused:UNUSED_PAD src0_sel:DWORD src1_sel:BYTE_0
	v_add3_u32 v21, 0, v80, v21
	s_mov_b32 s2, 0x3f5db3d7
	s_waitcnt lgkmcnt(0)
	s_barrier
	v_mul_u32_u24_e32 v15, 0x210, v15
	v_lshlrev_b32_e32 v23, 3, v23
	v_mul_u32_u24_e32 v51, 0x210, v51
	v_add3_u32 v15, 0, v15, v23
	v_lshlrev_b32_sdwa v23, v13, v57 dst_sel:DWORD dst_unused:UNUSED_PAD src0_sel:DWORD src1_sel:BYTE_0
	v_add3_u32 v23, 0, v51, v23
	v_lshlrev_b32_e32 v47, 3, v47
	v_add3_u32 v19, 0, v19, v47
	v_add_u32_e32 v47, 0xc00, v116
	s_mov_b32 s10, 0x3f737871
	s_mov_b32 s12, 0x3f167918
	s_waitcnt vmcnt(4)
	v_pk_mul_f32 v[80:81], v[64:65], v[6:7] op_sel:[0,1]
	v_mov_b32_e32 v82, v9
	v_pk_fma_f32 v[88:89], v[64:65], v[6:7], v[80:81] op_sel:[0,0,1] op_sel_hi:[1,1,0]
	v_pk_fma_f32 v[6:7], v[64:65], v[6:7], v[80:81] op_sel:[0,0,1] op_sel_hi:[1,0,0] neg_lo:[0,0,1] neg_hi:[0,0,1]
	s_waitcnt vmcnt(3)
	v_pk_mul_f32 v[84:85], v[62:63], v[24:25] op_sel:[0,1]
	v_mov_b32_e32 v86, v27
	v_pk_fma_f32 v[80:81], v[62:63], v[24:25], v[84:85] op_sel:[0,0,1] op_sel_hi:[1,1,0]
	v_pk_fma_f32 v[24:25], v[62:63], v[24:25], v[84:85] op_sel:[0,0,1] op_sel_hi:[1,0,0] neg_lo:[0,0,1] neg_hi:[0,0,1]
	v_pk_mul_f32 v[62:63], v[68:69], v[86:87] op_sel_hi:[1,0]
	v_pk_mul_f32 v[64:65], v[76:77], v[82:83] op_sel_hi:[1,0]
	v_mov_b32_e32 v81, v25
	v_pk_fma_f32 v[24:25], v[68:69], v[26:27], v[62:63] op_sel:[0,0,1] op_sel_hi:[1,1,0]
	v_pk_fma_f32 v[26:27], v[68:69], v[26:27], v[62:63] op_sel:[0,0,1] op_sel_hi:[1,0,0] neg_lo:[0,0,1] neg_hi:[0,0,1]
	s_waitcnt vmcnt(2)
	v_pk_mul_f32 v[62:63], v[60:61], v[28:29] op_sel:[0,1]
	v_mov_b32_e32 v89, v7
	v_pk_fma_f32 v[6:7], v[76:77], v[8:9], v[64:65] op_sel:[0,0,1] op_sel_hi:[1,1,0]
	v_pk_fma_f32 v[8:9], v[76:77], v[8:9], v[64:65] op_sel:[0,0,1] op_sel_hi:[1,0,0] neg_lo:[0,0,1] neg_hi:[0,0,1]
	v_pk_fma_f32 v[64:65], v[60:61], v[28:29], v[62:63] op_sel:[0,0,1] op_sel_hi:[1,1,0]
	v_pk_fma_f32 v[28:29], v[60:61], v[28:29], v[62:63] op_sel:[0,0,1] op_sel_hi:[1,0,0] neg_lo:[0,0,1] neg_hi:[0,0,1]
	v_mov_b32_e32 v25, v27
	v_mov_b32_e32 v28, v31
	;; [unrolled: 1-line block ×3, first 2 shown]
	v_pk_mul_f32 v[28:29], v[66:67], v[28:29] op_sel_hi:[1,0]
	v_pk_add_f32 v[26:27], v[70:71], v[80:81]
	v_pk_fma_f32 v[60:61], v[66:67], v[30:31], v[28:29] op_sel:[0,0,1] op_sel_hi:[1,1,0]
	v_pk_fma_f32 v[28:29], v[66:67], v[30:31], v[28:29] op_sel:[0,0,1] op_sel_hi:[1,0,0] neg_lo:[0,0,1] neg_hi:[0,0,1]
	s_waitcnt vmcnt(1)
	v_pk_mul_f32 v[30:31], v[32:33], v[58:59] op_sel:[0,1]
	v_mov_b32_e32 v61, v29
	v_pk_fma_f32 v[62:63], v[32:33], v[58:59], v[30:31] op_sel:[0,0,1] op_sel_hi:[1,1,0]
	v_pk_fma_f32 v[30:31], v[32:33], v[58:59], v[30:31] op_sel:[0,0,1] op_sel_hi:[1,0,0] neg_lo:[1,0,0] neg_hi:[1,0,0]
	v_pk_add_f32 v[26:27], v[26:27], v[24:25]
	v_mov_b32_e32 v63, v31
	v_pk_mul_f32 v[30:31], v[34:35], v[42:43] op_sel:[0,1]
	v_pk_add_f32 v[28:29], v[72:73], v[64:65]
	v_pk_fma_f32 v[32:33], v[34:35], v[42:43], v[30:31] op_sel:[0,0,1] op_sel_hi:[1,1,0]
	v_pk_fma_f32 v[30:31], v[34:35], v[42:43], v[30:31] op_sel:[0,0,1] op_sel_hi:[1,0,0] neg_lo:[1,0,0] neg_hi:[1,0,0]
	s_waitcnt vmcnt(0)
	v_pk_mul_f32 v[34:35], v[36:37], v[0:1] op_sel:[0,1]
	v_mov_b32_e32 v33, v31
	v_pk_fma_f32 v[42:43], v[36:37], v[0:1], v[34:35] op_sel:[0,0,1] op_sel_hi:[1,1,0]
	v_pk_fma_f32 v[0:1], v[36:37], v[0:1], v[34:35] op_sel:[0,0,1] op_sel_hi:[1,0,0] neg_lo:[1,0,0] neg_hi:[1,0,0]
	v_pk_add_f32 v[30:31], v[74:75], v[62:63]
	v_mov_b32_e32 v43, v1
	v_pk_mul_f32 v[0:1], v[38:39], v[40:41] op_sel:[0,1]
	v_pk_add_f32 v[30:31], v[30:31], v[32:33]
	v_pk_fma_f32 v[34:35], v[38:39], v[40:41], v[0:1] op_sel:[0,0,1] op_sel_hi:[1,1,0]
	v_pk_fma_f32 v[0:1], v[38:39], v[40:41], v[0:1] op_sel:[0,0,1] op_sel_hi:[1,0,0] neg_lo:[1,0,0] neg_hi:[1,0,0]
	v_pk_add_f32 v[28:29], v[28:29], v[60:61]
	v_mov_b32_e32 v35, v1
	v_pk_add_f32 v[0:1], v[78:79], v[42:43]
	v_pk_add_f32 v[36:37], v[42:43], v[34:35]
	;; [unrolled: 1-line block ×3, first 2 shown]
	v_pk_add_f32 v[34:35], v[42:43], v[34:35] neg_lo:[0,1] neg_hi:[0,1]
	v_pk_fma_f32 v[36:37], v[36:37], 0.5, v[78:79] op_sel_hi:[1,0,1] neg_lo:[1,0,0] neg_hi:[1,0,0]
	v_pk_mul_f32 v[34:35], v[34:35], s[2:3] op_sel_hi:[1,0]
	v_mov_b32_e32 v7, v9
	v_pk_add_f32 v[38:39], v[36:37], v[34:35] op_sel:[0,1] op_sel_hi:[1,0] neg_lo:[0,1] neg_hi:[0,1]
	v_pk_add_f32 v[34:35], v[36:37], v[34:35] op_sel:[0,1] op_sel_hi:[1,0]
	v_mov_b32_e32 v36, v38
	v_mov_b32_e32 v37, v35
	ds_write2_b64 v21, v[0:1], v[36:37] offset1:22
	v_pk_add_f32 v[0:1], v[62:63], v[32:33]
	v_pk_add_f32 v[32:33], v[62:63], v[32:33] neg_lo:[0,1] neg_hi:[0,1]
	v_mov_b32_e32 v35, v39
	v_pk_fma_f32 v[0:1], v[0:1], 0.5, v[74:75] op_sel_hi:[1,0,1] neg_lo:[1,0,0] neg_hi:[1,0,0]
	v_pk_mul_f32 v[32:33], v[32:33], s[2:3] op_sel_hi:[1,0]
	ds_write_b64 v21, v[34:35] offset:352
	v_pk_add_f32 v[34:35], v[0:1], v[32:33] op_sel:[0,1] op_sel_hi:[1,0] neg_lo:[0,1] neg_hi:[0,1]
	v_pk_add_f32 v[0:1], v[0:1], v[32:33] op_sel:[0,1] op_sel_hi:[1,0]
	v_mov_b32_e32 v32, v34
	v_mov_b32_e32 v33, v1
	;; [unrolled: 1-line block ×3, first 2 shown]
	ds_write2_b64 v23, v[30:31], v[32:33] offset1:22
	ds_write_b64 v23, v[0:1] offset:352
	v_pk_add_f32 v[0:1], v[64:65], v[60:61]
	v_pk_add_f32 v[30:31], v[64:65], v[60:61] neg_lo:[0,1] neg_hi:[0,1]
	v_pk_fma_f32 v[0:1], v[0:1], 0.5, v[72:73] op_sel_hi:[1,0,1] neg_lo:[1,0,0] neg_hi:[1,0,0]
	v_pk_mul_f32 v[30:31], v[30:31], s[2:3] op_sel_hi:[1,0]
	v_pk_add_f32 v[8:9], v[10:11], v[88:89]
	v_pk_add_f32 v[32:33], v[0:1], v[30:31] op_sel:[0,1] op_sel_hi:[1,0] neg_lo:[0,1] neg_hi:[0,1]
	v_pk_add_f32 v[0:1], v[0:1], v[30:31] op_sel:[0,1] op_sel_hi:[1,0]
	v_mov_b32_e32 v30, v32
	v_mov_b32_e32 v31, v1
	;; [unrolled: 1-line block ×3, first 2 shown]
	ds_write_b64 v19, v[0:1] offset:352
	v_pk_add_f32 v[0:1], v[80:81], v[24:25]
	v_pk_add_f32 v[24:25], v[80:81], v[24:25] neg_lo:[0,1] neg_hi:[0,1]
	v_pk_fma_f32 v[0:1], v[0:1], 0.5, v[70:71] op_sel_hi:[1,0,1] neg_lo:[1,0,0] neg_hi:[1,0,0]
	v_pk_mul_f32 v[24:25], v[24:25], s[2:3] op_sel_hi:[1,0]
	ds_write2_b64 v19, v[28:29], v[30:31] offset1:22
	v_pk_add_f32 v[28:29], v[0:1], v[24:25] op_sel:[0,1] op_sel_hi:[1,0] neg_lo:[0,1] neg_hi:[0,1]
	v_pk_add_f32 v[0:1], v[0:1], v[24:25] op_sel:[0,1] op_sel_hi:[1,0]
	v_pk_add_f32 v[8:9], v[8:9], v[6:7]
	v_mov_b32_e32 v25, v1
	v_mov_b32_e32 v1, v29
	ds_write_b64 v5, v[0:1] offset:352
	v_pk_add_f32 v[0:1], v[88:89], v[6:7]
	v_pk_add_f32 v[6:7], v[88:89], v[6:7] neg_lo:[0,1] neg_hi:[0,1]
	v_pk_fma_f32 v[0:1], v[0:1], 0.5, v[10:11] op_sel_hi:[1,0,1] neg_lo:[1,0,0] neg_hi:[1,0,0]
	v_pk_mul_f32 v[6:7], v[6:7], s[2:3] op_sel_hi:[1,0]
	v_mov_b32_e32 v24, v28
	v_pk_add_f32 v[10:11], v[0:1], v[6:7] op_sel:[0,1] op_sel_hi:[1,0] neg_lo:[0,1] neg_hi:[0,1]
	v_pk_add_f32 v[0:1], v[0:1], v[6:7] op_sel:[0,1] op_sel_hi:[1,0]
	s_mov_b32 s2, 0xf83f
	v_mov_b32_e32 v7, v1
	v_mov_b32_e32 v1, v11
	ds_write2_b64 v5, v[26:27], v[24:25] offset1:22
	ds_write_b64 v15, v[0:1] offset:352
	v_mul_u32_u24_sdwa v0, v22, s2 dst_sel:DWORD dst_unused:UNUSED_PAD src0_sel:WORD_0 src1_sel:DWORD
	v_lshrrev_b32_e32 v5, 22, v0
	v_mov_b32_e32 v6, v10
	v_mul_lo_u16_e32 v0, 0x42, v5
	ds_write2_b64 v15, v[8:9], v[6:7] offset1:22
	v_sub_u16_e32 v15, v22, v0
	v_lshlrev_b32_e32 v0, 5, v15
	s_waitcnt lgkmcnt(0)
	s_barrier
	global_load_dwordx4 v[6:9], v0, s[8:9] offset:440
	global_load_dwordx4 v[24:27], v0, s[8:9] offset:456
	s_movk_i32 s2, 0xf9
	v_mul_lo_u16_sdwa v0, v50, s2 dst_sel:DWORD dst_unused:UNUSED_PAD src0_sel:BYTE_0 src1_sel:DWORD
	v_lshrrev_b16_e32 v19, 14, v0
	v_mul_lo_u16_e32 v0, 0x42, v19
	v_sub_u16_e32 v21, v50, v0
	v_mov_b32_e32 v0, 5
	v_lshlrev_b32_sdwa v0, v0, v21 dst_sel:DWORD dst_unused:UNUSED_PAD src0_sel:DWORD src1_sel:BYTE_0
	global_load_dwordx4 v[28:31], v0, s[8:9] offset:440
	global_load_dwordx4 v[32:35], v0, s[8:9] offset:456
	s_movk_i32 s2, 0x42
	v_add_u32_e32 v0, 0xffffffbe, v46
	v_cmp_gt_u32_e64 s[2:3], s2, v46
	v_mov_b32_e32 v1, 0
	v_lshlrev_b32_sdwa v13, v13, v21 dst_sel:DWORD dst_unused:UNUSED_PAD src0_sel:DWORD src1_sel:BYTE_0
	v_cndmask_b32_e64 v23, v0, v46, s[2:3]
	v_lshlrev_b32_e32 v0, 2, v23
	v_lshl_add_u64 v[10:11], v[0:1], 3, s[8:9]
	global_load_dwordx4 v[36:39], v[10:11], off offset:440
	global_load_dwordx4 v[40:43], v[10:11], off offset:456
	s_movk_i32 s2, 0x41
	v_mov_b32_e32 v0, 0xa50
	v_cmp_lt_u32_e64 s[2:3], s2, v46
	v_lshlrev_b32_e32 v23, 3, v23
	ds_read_b64 v[10:11], v54
	ds_read_b64 v[74:75], v17 offset:5280
	ds_read2_b64 v[58:61], v3 offset0:112 offset1:222
	ds_read2_b64 v[62:65], v4 offset0:40 offset1:150
	v_cndmask_b32_e64 v0, 0, v0, s[2:3]
	v_add3_u32 v23, 0, v0, v23
	v_mul_u32_u24_e32 v0, 0xa50, v19
	v_add_u32_e32 v19, 0x1100, v116
	ds_read2_b64 v[66:69], v19 offset0:6 offset1:226
	ds_read2_b32 v[76:77], v47 offset0:112 offset1:113
	v_add3_u32 v13, 0, v0, v13
	v_mul_u32_u24_e32 v0, 0xa50, v5
	v_lshlrev_b32_e32 v5, 3, v15
	ds_read2_b64 v[70:73], v2 offset0:76 offset1:186
	ds_read_b64 v[78:79], v116 offset:12320
	v_add3_u32 v5, 0, v0, v5
	s_mov_b32 s2, 0x3e9e377a
	s_waitcnt vmcnt(5) lgkmcnt(3)
	v_pk_mul_f32 v[80:81], v[66:67], v[6:7] op_sel:[0,1]
	s_nop 0
	v_pk_fma_f32 v[82:83], v[66:67], v[6:7], v[80:81] op_sel:[0,0,1] op_sel_hi:[1,1,0]
	v_pk_fma_f32 v[6:7], v[66:67], v[6:7], v[80:81] op_sel:[0,0,1] op_sel_hi:[1,0,0] neg_lo:[0,0,1] neg_hi:[0,0,1]
	v_mov_b32_e32 v0, v9
	v_mov_b32_e32 v83, v7
	v_pk_mul_f32 v[6:7], v[58:59], v[0:1] op_sel_hi:[1,0]
	s_waitcnt vmcnt(4)
	v_mov_b32_e32 v0, v27
	v_pk_fma_f32 v[66:67], v[58:59], v[8:9], v[6:7] op_sel:[0,0,1] op_sel_hi:[1,1,0]
	v_pk_fma_f32 v[6:7], v[58:59], v[8:9], v[6:7] op_sel:[0,0,1] op_sel_hi:[1,0,0] neg_lo:[0,0,1] neg_hi:[0,0,1]
	s_nop 0
	v_mov_b32_e32 v67, v7
	s_waitcnt lgkmcnt(1)
	v_pk_mul_f32 v[6:7], v[72:73], v[24:25] op_sel:[0,1]
	s_nop 0
	v_pk_fma_f32 v[8:9], v[72:73], v[24:25], v[6:7] op_sel:[0,0,1] op_sel_hi:[1,1,0]
	v_pk_fma_f32 v[6:7], v[72:73], v[24:25], v[6:7] op_sel:[0,0,1] op_sel_hi:[1,0,0] neg_lo:[0,0,1] neg_hi:[0,0,1]
	s_waitcnt lgkmcnt(0)
	v_pk_mul_f32 v[72:73], v[78:79], v[0:1] op_sel_hi:[1,0]
	v_mov_b32_e32 v0, v77
	v_pk_fma_f32 v[80:81], v[78:79], v[26:27], v[72:73] op_sel:[0,0,1] op_sel_hi:[1,1,0]
	v_pk_fma_f32 v[26:27], v[78:79], v[26:27], v[72:73] op_sel:[0,0,1] op_sel_hi:[1,0,0] neg_lo:[0,0,1] neg_hi:[0,0,1]
	s_waitcnt vmcnt(3)
	v_pk_mul_f32 v[72:73], v[0:1], v[28:29] op_sel_hi:[0,1]
	v_pk_fma_f32 v[78:79], v[28:29], v[76:77], v[72:73] op_sel:[0,0,1] op_sel_hi:[1,1,0]
	v_pk_fma_f32 v[28:29], v[28:29], v[76:77], v[72:73] op_sel:[0,0,1] op_sel_hi:[1,0,0] neg_lo:[1,0,0] neg_hi:[1,0,0]
	v_mov_b32_e32 v0, v31
	v_mov_b32_e32 v79, v29
	v_pk_mul_f32 v[28:29], v[68:69], v[0:1] op_sel_hi:[1,0]
	s_waitcnt vmcnt(2)
	v_mov_b32_e32 v0, v35
	v_pk_fma_f32 v[72:73], v[68:69], v[30:31], v[28:29] op_sel:[0,0,1] op_sel_hi:[1,1,0]
	v_pk_fma_f32 v[28:29], v[68:69], v[30:31], v[28:29] op_sel:[0,0,1] op_sel_hi:[1,0,0] neg_lo:[0,0,1] neg_hi:[0,0,1]
	v_mov_b32_e32 v9, v7
	v_mov_b32_e32 v73, v29
	v_pk_mul_f32 v[28:29], v[70:71], v[32:33] op_sel:[0,1]
	ds_read_b64 v[6:7], v55
	ds_read_b64 v[24:25], v56
	;; [unrolled: 1-line block ×3, first 2 shown]
	v_pk_fma_f32 v[30:31], v[70:71], v[32:33], v[28:29] op_sel:[0,0,1] op_sel_hi:[1,1,0]
	v_pk_fma_f32 v[28:29], v[70:71], v[32:33], v[28:29] op_sel:[0,0,1] op_sel_hi:[1,0,0] neg_lo:[0,0,1] neg_hi:[0,0,1]
	s_waitcnt lgkmcnt(0)
	v_mov_b32_e32 v31, v29
	v_pk_mul_f32 v[28:29], v[64:65], v[0:1] op_sel_hi:[1,0]
	s_barrier
	v_pk_fma_f32 v[32:33], v[64:65], v[34:35], v[28:29] op_sel:[0,0,1] op_sel_hi:[1,1,0]
	v_pk_fma_f32 v[28:29], v[64:65], v[34:35], v[28:29] op_sel:[0,0,1] op_sel_hi:[1,0,0] neg_lo:[0,0,1] neg_hi:[0,0,1]
	s_waitcnt vmcnt(1)
	v_pk_mul_f32 v[34:35], v[36:37], v[10:11] op_sel:[0,1]
	s_nop 0
	v_pk_fma_f32 v[64:65], v[36:37], v[10:11], v[34:35] op_sel:[0,0,1] op_sel_hi:[1,1,0]
	v_pk_fma_f32 v[10:11], v[36:37], v[10:11], v[34:35] op_sel:[0,0,1] op_sel_hi:[1,0,0] neg_lo:[1,0,0] neg_hi:[1,0,0]
	v_mov_b32_e32 v33, v29
	v_mov_b32_e32 v65, v11
	v_pk_mul_f32 v[10:11], v[38:39], v[74:75] op_sel:[0,1]
	v_pk_add_f32 v[28:29], v[24:25], v[78:79]
	v_pk_fma_f32 v[34:35], v[38:39], v[74:75], v[10:11] op_sel:[0,0,1] op_sel_hi:[1,1,0]
	v_pk_fma_f32 v[10:11], v[38:39], v[74:75], v[10:11] op_sel:[0,0,1] op_sel_hi:[1,0,0] neg_lo:[1,0,0] neg_hi:[1,0,0]
	v_pk_add_f32 v[28:29], v[28:29], v[72:73]
	v_mov_b32_e32 v35, v11
	s_waitcnt vmcnt(0)
	v_pk_mul_f32 v[10:11], v[40:41], v[60:61] op_sel:[0,1]
	v_pk_add_f32 v[70:71], v[64:65], v[34:35] neg_lo:[0,1] neg_hi:[0,1]
	v_pk_fma_f32 v[36:37], v[40:41], v[60:61], v[10:11] op_sel:[0,0,1] op_sel_hi:[1,1,0]
	v_pk_fma_f32 v[10:11], v[40:41], v[60:61], v[10:11] op_sel:[0,0,1] op_sel_hi:[1,0,0] neg_lo:[1,0,0] neg_hi:[1,0,0]
	v_pk_add_f32 v[28:29], v[28:29], v[30:31]
	v_mov_b32_e32 v37, v11
	v_pk_mul_f32 v[10:11], v[42:43], v[62:63] op_sel:[0,1]
	v_pk_add_f32 v[40:41], v[34:35], v[36:37]
	v_pk_fma_f32 v[38:39], v[42:43], v[62:63], v[10:11] op_sel:[0,0,1] op_sel_hi:[1,1,0]
	v_pk_fma_f32 v[10:11], v[42:43], v[62:63], v[10:11] op_sel:[0,0,1] op_sel_hi:[1,0,0] neg_lo:[1,0,0] neg_hi:[1,0,0]
	v_pk_fma_f32 v[40:41], v[40:41], 0.5, v[58:59] op_sel_hi:[1,0,1] neg_lo:[1,0,0] neg_hi:[1,0,0]
	v_mov_b32_e32 v39, v11
	v_pk_add_f32 v[42:43], v[64:65], v[38:39] neg_lo:[0,1] neg_hi:[0,1]
	v_pk_add_f32 v[62:63], v[34:35], v[36:37] neg_lo:[0,1] neg_hi:[0,1]
	v_pk_mul_f32 v[60:61], v[42:43], s[10:11] op_sel_hi:[1,0]
	v_pk_add_f32 v[74:75], v[38:39], v[36:37] neg_lo:[0,1] neg_hi:[0,1]
	v_pk_add_f32 v[10:11], v[58:59], v[64:65]
	v_pk_mul_f32 v[68:69], v[62:63], s[12:13] op_sel_hi:[1,0]
	v_pk_add_f32 v[70:71], v[70:71], v[74:75]
	v_pk_add_f32 v[74:75], v[40:41], v[60:61] op_sel:[0,1] op_sel_hi:[1,0] neg_lo:[0,1] neg_hi:[0,1]
	v_pk_add_f32 v[40:41], v[40:41], v[60:61] op_sel:[0,1] op_sel_hi:[1,0]
	v_pk_add_f32 v[10:11], v[10:11], v[34:35]
	v_pk_add_f32 v[40:41], v[40:41], v[68:69] op_sel:[0,1] op_sel_hi:[1,0]
	v_pk_add_f32 v[60:61], v[74:75], v[68:69] op_sel:[0,1] op_sel_hi:[1,0] neg_lo:[0,1] neg_hi:[0,1]
	v_pk_add_f32 v[10:11], v[10:11], v[36:37]
	v_mov_b32_e32 v68, v60
	v_mov_b32_e32 v69, v41
	v_pk_add_f32 v[10:11], v[10:11], v[38:39]
	v_pk_fma_f32 v[68:69], v[70:71], s[2:3], v[68:69] op_sel_hi:[1,0,1]
	ds_write2_b64 v23, v[10:11], v[68:69] offset1:66
	v_pk_add_f32 v[10:11], v[64:65], v[38:39]
	v_pk_add_f32 v[34:35], v[34:35], v[64:65] neg_lo:[0,1] neg_hi:[0,1]
	v_pk_add_f32 v[36:37], v[36:37], v[38:39] neg_lo:[0,1] neg_hi:[0,1]
	v_pk_fma_f32 v[10:11], v[10:11], 0.5, v[58:59] op_sel_hi:[1,0,1] neg_lo:[1,0,0] neg_hi:[1,0,0]
	v_pk_add_f32 v[34:35], v[34:35], v[36:37]
	v_pk_mul_f32 v[36:37], v[62:63], s[10:11] op_sel_hi:[1,0]
	v_pk_mul_f32 v[38:39], v[42:43], s[12:13] op_sel_hi:[1,0]
	v_pk_add_f32 v[42:43], v[10:11], v[36:37] op_sel:[0,1] op_sel_hi:[1,0]
	v_pk_add_f32 v[10:11], v[10:11], v[36:37] op_sel:[0,1] op_sel_hi:[1,0] neg_lo:[0,1] neg_hi:[0,1]
	v_pk_add_f32 v[36:37], v[42:43], v[38:39] op_sel:[0,1] op_sel_hi:[1,0] neg_lo:[0,1] neg_hi:[0,1]
	v_pk_add_f32 v[10:11], v[10:11], v[38:39] op_sel:[0,1] op_sel_hi:[1,0]
	v_mov_b32_e32 v38, v36
	v_mov_b32_e32 v39, v11
	;; [unrolled: 1-line block ×3, first 2 shown]
	v_pk_fma_f32 v[38:39], v[34:35], s[2:3], v[38:39] op_sel_hi:[1,0,1]
	v_pk_fma_f32 v[10:11], v[34:35], s[2:3], v[10:11] op_sel_hi:[1,0,1]
	v_mov_b32_e32 v41, v61
	ds_write2_b64 v23, v[38:39], v[10:11] offset0:132 offset1:198
	v_pk_fma_f32 v[10:11], v[70:71], s[2:3], v[40:41] op_sel_hi:[1,0,1]
	ds_write_b64 v23, v[10:11] offset:2112
	v_pk_add_f32 v[10:11], v[72:73], v[30:31]
	v_pk_add_f32 v[34:35], v[78:79], v[32:33] neg_lo:[0,1] neg_hi:[0,1]
	v_pk_fma_f32 v[10:11], v[10:11], 0.5, v[24:25] op_sel_hi:[1,0,1] neg_lo:[1,0,0] neg_hi:[1,0,0]
	v_pk_mul_f32 v[36:37], v[34:35], s[10:11] op_sel_hi:[1,0]
	v_pk_add_f32 v[38:39], v[72:73], v[30:31] neg_lo:[0,1] neg_hi:[0,1]
	v_pk_add_f32 v[42:43], v[78:79], v[72:73] neg_lo:[0,1] neg_hi:[0,1]
	;; [unrolled: 1-line block ×3, first 2 shown]
	v_pk_mul_f32 v[40:41], v[38:39], s[12:13] op_sel_hi:[1,0]
	v_pk_add_f32 v[42:43], v[42:43], v[58:59]
	v_pk_add_f32 v[58:59], v[10:11], v[36:37] op_sel:[0,1] op_sel_hi:[1,0] neg_lo:[0,1] neg_hi:[0,1]
	v_pk_add_f32 v[10:11], v[10:11], v[36:37] op_sel:[0,1] op_sel_hi:[1,0]
	v_pk_add_f32 v[36:37], v[58:59], v[40:41] op_sel:[0,1] op_sel_hi:[1,0] neg_lo:[0,1] neg_hi:[0,1]
	v_pk_add_f32 v[10:11], v[10:11], v[40:41] op_sel:[0,1] op_sel_hi:[1,0]
	v_mov_b32_e32 v40, v36
	v_mov_b32_e32 v41, v11
	v_pk_add_f32 v[28:29], v[28:29], v[32:33]
	v_pk_fma_f32 v[40:41], v[42:43], s[2:3], v[40:41] op_sel_hi:[1,0,1]
	ds_write2_b64 v13, v[28:29], v[40:41] offset1:66
	v_pk_add_f32 v[28:29], v[78:79], v[32:33]
	v_pk_add_f32 v[30:31], v[30:31], v[32:33] neg_lo:[0,1] neg_hi:[0,1]
	v_pk_fma_f32 v[24:25], v[28:29], 0.5, v[24:25] op_sel_hi:[1,0,1] neg_lo:[1,0,0] neg_hi:[1,0,0]
	v_pk_add_f32 v[28:29], v[72:73], v[78:79] neg_lo:[0,1] neg_hi:[0,1]
	v_pk_mul_f32 v[32:33], v[34:35], s[12:13] op_sel_hi:[1,0]
	v_pk_add_f32 v[28:29], v[28:29], v[30:31]
	v_pk_mul_f32 v[30:31], v[38:39], s[10:11] op_sel_hi:[1,0]
	v_mov_b32_e32 v11, v37
	v_pk_add_f32 v[34:35], v[24:25], v[30:31] op_sel:[0,1] op_sel_hi:[1,0]
	v_pk_add_f32 v[24:25], v[24:25], v[30:31] op_sel:[0,1] op_sel_hi:[1,0] neg_lo:[0,1] neg_hi:[0,1]
	v_pk_add_f32 v[30:31], v[34:35], v[32:33] op_sel:[0,1] op_sel_hi:[1,0] neg_lo:[0,1] neg_hi:[0,1]
	v_pk_add_f32 v[24:25], v[24:25], v[32:33] op_sel:[0,1] op_sel_hi:[1,0]
	v_mov_b32_e32 v32, v30
	v_mov_b32_e32 v33, v25
	;; [unrolled: 1-line block ×4, first 2 shown]
	v_pk_fma_f32 v[32:33], v[28:29], s[2:3], v[32:33] op_sel_hi:[1,0,1]
	v_pk_fma_f32 v[24:25], v[28:29], s[2:3], v[24:25] op_sel_hi:[1,0,1]
	;; [unrolled: 1-line block ×3, first 2 shown]
	ds_write2_b64 v13, v[32:33], v[24:25] offset0:132 offset1:198
	ds_write_b64 v13, v[10:11] offset:2112
	v_pk_add_f32 v[10:11], v[66:67], v[8:9]
	v_pk_add_f32 v[24:25], v[82:83], v[80:81] neg_lo:[0,1] neg_hi:[0,1]
	v_pk_fma_f32 v[10:11], v[10:11], 0.5, v[6:7] op_sel_hi:[1,0,1] neg_lo:[1,0,0] neg_hi:[1,0,0]
	v_pk_mul_f32 v[28:29], v[24:25], s[10:11] op_sel_hi:[1,0]
	v_pk_add_f32 v[30:31], v[66:67], v[8:9] neg_lo:[0,1] neg_hi:[0,1]
	v_pk_add_f32 v[34:35], v[82:83], v[66:67] neg_lo:[0,1] neg_hi:[0,1]
	v_pk_add_f32 v[36:37], v[80:81], v[8:9] neg_lo:[0,1] neg_hi:[0,1]
	v_pk_add_f32 v[26:27], v[6:7], v[82:83]
	v_pk_mul_f32 v[32:33], v[30:31], s[12:13] op_sel_hi:[1,0]
	v_pk_add_f32 v[34:35], v[34:35], v[36:37]
	v_pk_add_f32 v[36:37], v[10:11], v[28:29] op_sel:[0,1] op_sel_hi:[1,0] neg_lo:[0,1] neg_hi:[0,1]
	v_pk_add_f32 v[10:11], v[10:11], v[28:29] op_sel:[0,1] op_sel_hi:[1,0]
	v_pk_add_f32 v[26:27], v[26:27], v[66:67]
	v_pk_add_f32 v[10:11], v[10:11], v[32:33] op_sel:[0,1] op_sel_hi:[1,0]
	v_pk_add_f32 v[28:29], v[36:37], v[32:33] op_sel:[0,1] op_sel_hi:[1,0] neg_lo:[0,1] neg_hi:[0,1]
	v_pk_add_f32 v[26:27], v[26:27], v[8:9]
	v_mov_b32_e32 v32, v28
	v_mov_b32_e32 v33, v11
	v_pk_add_f32 v[26:27], v[26:27], v[80:81]
	v_pk_fma_f32 v[32:33], v[34:35], s[2:3], v[32:33] op_sel_hi:[1,0,1]
	ds_write2_b64 v5, v[26:27], v[32:33] offset1:66
	v_pk_add_f32 v[26:27], v[82:83], v[80:81]
	v_pk_add_f32 v[8:9], v[8:9], v[80:81] neg_lo:[0,1] neg_hi:[0,1]
	v_pk_fma_f32 v[6:7], v[26:27], 0.5, v[6:7] op_sel_hi:[1,0,1] neg_lo:[1,0,0] neg_hi:[1,0,0]
	v_pk_add_f32 v[26:27], v[66:67], v[82:83] neg_lo:[0,1] neg_hi:[0,1]
	v_pk_mul_f32 v[24:25], v[24:25], s[12:13] op_sel_hi:[1,0]
	v_pk_add_f32 v[8:9], v[26:27], v[8:9]
	v_pk_mul_f32 v[26:27], v[30:31], s[10:11] op_sel_hi:[1,0]
	v_mov_b32_e32 v11, v29
	v_pk_add_f32 v[30:31], v[6:7], v[26:27] op_sel:[0,1] op_sel_hi:[1,0]
	v_pk_add_f32 v[6:7], v[6:7], v[26:27] op_sel:[0,1] op_sel_hi:[1,0] neg_lo:[0,1] neg_hi:[0,1]
	v_lshlrev_b32_e32 v0, 2, v46
	v_pk_add_f32 v[6:7], v[6:7], v[24:25] op_sel:[0,1] op_sel_hi:[1,0]
	v_pk_add_f32 v[24:25], v[30:31], v[24:25] op_sel:[0,1] op_sel_hi:[1,0] neg_lo:[0,1] neg_hi:[0,1]
	v_mov_b32_e32 v27, v7
	v_mov_b32_e32 v26, v24
	v_mov_b32_e32 v7, v25
	v_pk_fma_f32 v[26:27], v[8:9], s[2:3], v[26:27] op_sel_hi:[1,0,1]
	v_pk_fma_f32 v[6:7], v[8:9], s[2:3], v[6:7] op_sel_hi:[1,0,1]
	ds_write2_b64 v5, v[26:27], v[6:7] offset0:132 offset1:198
	v_pk_fma_f32 v[6:7], v[34:35], s[2:3], v[10:11] op_sel_hi:[1,0,1]
	v_lshl_add_u64 v[10:11], v[0:1], 3, s[8:9]
	ds_write_b64 v5, v[6:7] offset:2112
	s_waitcnt lgkmcnt(0)
	s_barrier
	global_load_dwordx4 v[6:9], v[10:11], off offset:2552
	global_load_dwordx4 v[24:27], v[10:11], off offset:2568
	v_lshlrev_b32_e32 v0, 2, v50
	v_lshl_add_u64 v[10:11], v[0:1], 3, s[8:9]
	v_lshlrev_b32_e32 v0, 2, v22
	v_lshl_add_u64 v[36:37], v[0:1], 3, s[8:9]
	global_load_dwordx4 v[28:31], v[36:37], off offset:2552
	global_load_dwordx4 v[32:35], v[36:37], off offset:2568
	ds_read_b64 v[66:67], v54
	ds_read_b64 v[68:69], v17 offset:5280
	ds_read2_b64 v[36:39], v3 offset0:112 offset1:222
	ds_read2_b64 v[40:43], v4 offset0:40 offset1:150
	ds_read2_b32 v[70:71], v47 offset0:112 offset1:113
	global_load_dwordx4 v[58:61], v[10:11], off offset:2568
	global_load_dwordx4 v[62:65], v[10:11], off offset:2552
	s_add_u32 s8, s8, 0x3338
	s_addc_u32 s9, s9, 0
	s_waitcnt vmcnt(5) lgkmcnt(4)
	v_pk_mul_f32 v[4:5], v[6:7], v[66:67] op_sel:[0,1]
	s_nop 0
	v_pk_fma_f32 v[72:73], v[6:7], v[66:67], v[4:5] op_sel:[0,0,1] op_sel_hi:[1,1,0]
	v_pk_fma_f32 v[4:5], v[6:7], v[66:67], v[4:5] op_sel:[0,0,1] op_sel_hi:[1,0,0] neg_lo:[1,0,0] neg_hi:[1,0,0]
	s_waitcnt vmcnt(3)
	v_mov_b32_e32 v0, v31
	v_mov_b32_e32 v73, v5
	s_waitcnt lgkmcnt(3)
	v_pk_mul_f32 v[4:5], v[8:9], v[68:69] op_sel:[0,1]
	s_nop 0
	v_pk_fma_f32 v[66:67], v[8:9], v[68:69], v[4:5] op_sel:[0,0,1] op_sel_hi:[1,1,0]
	v_pk_fma_f32 v[4:5], v[8:9], v[68:69], v[4:5] op_sel:[0,0,1] op_sel_hi:[1,0,0] neg_lo:[1,0,0] neg_hi:[1,0,0]
	s_nop 0
	v_mov_b32_e32 v67, v5
	s_waitcnt lgkmcnt(2)
	v_pk_mul_f32 v[4:5], v[24:25], v[38:39] op_sel:[0,1]
	v_pk_add_f32 v[80:81], v[72:73], v[66:67] neg_lo:[0,1] neg_hi:[0,1]
	v_pk_fma_f32 v[68:69], v[24:25], v[38:39], v[4:5] op_sel:[0,0,1] op_sel_hi:[1,1,0]
	v_pk_fma_f32 v[4:5], v[24:25], v[38:39], v[4:5] op_sel:[0,0,1] op_sel_hi:[1,0,0] neg_lo:[1,0,0] neg_hi:[1,0,0]
	s_nop 0
	v_mov_b32_e32 v69, v5
	s_waitcnt lgkmcnt(1)
	v_pk_mul_f32 v[4:5], v[26:27], v[40:41] op_sel:[0,1]
	s_nop 0
	v_pk_fma_f32 v[24:25], v[26:27], v[40:41], v[4:5] op_sel:[0,0,1] op_sel_hi:[1,1,0]
	v_pk_fma_f32 v[4:5], v[26:27], v[40:41], v[4:5] op_sel:[0,0,1] op_sel_hi:[1,0,0] neg_lo:[1,0,0] neg_hi:[1,0,0]
	ds_read_b64 v[26:27], v116
	v_mov_b32_e32 v25, v5
	ds_read_b64 v[38:39], v116 offset:12320
	ds_read_b64 v[40:41], v55
	ds_read_b64 v[74:75], v56
	ds_read2_b64 v[4:7], v19 offset0:6 offset1:226
	v_pk_add_f32 v[82:83], v[24:25], v[68:69] neg_lo:[0,1] neg_hi:[0,1]
	s_waitcnt lgkmcnt(4)
	v_pk_add_f32 v[8:9], v[26:27], v[72:73]
	v_pk_add_f32 v[80:81], v[80:81], v[82:83]
	v_pk_add_f32 v[8:9], v[8:9], v[66:67]
	s_nop 0
	v_pk_add_f32 v[8:9], v[8:9], v[68:69]
	s_nop 0
	v_pk_add_f32 v[76:77], v[8:9], v[24:25]
	ds_read2_b64 v[8:11], v2 offset0:76 offset1:186
	s_waitcnt lgkmcnt(1)
	v_pk_mul_f32 v[2:3], v[4:5], v[28:29] op_sel:[0,1]
	s_waitcnt lgkmcnt(0)
	v_pk_fma_f32 v[78:79], v[4:5], v[28:29], v[2:3] op_sel:[0,0,1] op_sel_hi:[1,1,0]
	v_pk_fma_f32 v[2:3], v[4:5], v[28:29], v[2:3] op_sel:[0,0,1] op_sel_hi:[1,0,0] neg_lo:[0,0,1] neg_hi:[0,0,1]
	s_barrier
	v_mov_b32_e32 v79, v3
	v_pk_mul_f32 v[2:3], v[36:37], v[0:1] op_sel_hi:[1,0]
	s_waitcnt vmcnt(2)
	v_mov_b32_e32 v0, v35
	v_pk_fma_f32 v[4:5], v[36:37], v[30:31], v[2:3] op_sel:[0,0,1] op_sel_hi:[1,1,0]
	v_pk_fma_f32 v[2:3], v[36:37], v[30:31], v[2:3] op_sel:[0,0,1] op_sel_hi:[1,0,0] neg_lo:[0,0,1] neg_hi:[0,0,1]
	v_pk_add_f32 v[30:31], v[66:67], v[68:69]
	v_mov_b32_e32 v5, v3
	v_pk_mul_f32 v[2:3], v[10:11], v[32:33] op_sel:[0,1]
	v_pk_fma_f32 v[30:31], v[30:31], 0.5, v[26:27] op_sel_hi:[1,0,1] neg_lo:[1,0,0] neg_hi:[1,0,0]
	v_pk_fma_f32 v[28:29], v[10:11], v[32:33], v[2:3] op_sel:[0,0,1] op_sel_hi:[1,1,0]
	v_pk_fma_f32 v[2:3], v[10:11], v[32:33], v[2:3] op_sel:[0,0,1] op_sel_hi:[1,0,0] neg_lo:[0,0,1] neg_hi:[0,0,1]
	v_pk_add_f32 v[32:33], v[72:73], v[24:25] neg_lo:[0,1] neg_hi:[0,1]
	v_mov_b32_e32 v29, v3
	v_pk_mul_f32 v[2:3], v[38:39], v[0:1] op_sel_hi:[1,0]
	v_pk_add_f32 v[36:37], v[66:67], v[68:69] neg_lo:[0,1] neg_hi:[0,1]
	v_pk_fma_f32 v[10:11], v[38:39], v[34:35], v[2:3] op_sel:[0,0,1] op_sel_hi:[1,1,0]
	v_pk_fma_f32 v[2:3], v[38:39], v[34:35], v[2:3] op_sel:[0,0,1] op_sel_hi:[1,0,0] neg_lo:[0,0,1] neg_hi:[0,0,1]
	v_pk_mul_f32 v[34:35], v[32:33], s[10:11] op_sel_hi:[1,0]
	v_pk_mul_f32 v[38:39], v[36:37], s[12:13] op_sel_hi:[1,0]
	v_pk_add_f32 v[82:83], v[30:31], v[34:35] op_sel:[0,1] op_sel_hi:[1,0] neg_lo:[0,1] neg_hi:[0,1]
	v_pk_add_f32 v[30:31], v[30:31], v[34:35] op_sel:[0,1] op_sel_hi:[1,0]
	v_pk_add_f32 v[34:35], v[82:83], v[38:39] op_sel:[0,1] op_sel_hi:[1,0] neg_lo:[0,1] neg_hi:[0,1]
	v_pk_add_f32 v[82:83], v[72:73], v[24:25]
	v_pk_add_f32 v[66:67], v[66:67], v[72:73] neg_lo:[0,1] neg_hi:[0,1]
	v_pk_fma_f32 v[26:27], v[82:83], 0.5, v[26:27] op_sel_hi:[1,0,1] neg_lo:[1,0,0] neg_hi:[1,0,0]
	v_pk_add_f32 v[24:25], v[68:69], v[24:25] neg_lo:[0,1] neg_hi:[0,1]
	v_pk_mul_f32 v[36:37], v[36:37], s[10:11] op_sel_hi:[1,0]
	v_pk_add_f32 v[24:25], v[66:67], v[24:25]
	v_pk_mul_f32 v[32:33], v[32:33], s[12:13] op_sel_hi:[1,0]
	v_pk_add_f32 v[66:67], v[26:27], v[36:37] op_sel:[0,1] op_sel_hi:[1,0]
	v_pk_add_f32 v[26:27], v[26:27], v[36:37] op_sel:[0,1] op_sel_hi:[1,0] neg_lo:[0,1] neg_hi:[0,1]
	v_pk_add_f32 v[30:31], v[30:31], v[38:39] op_sel:[0,1] op_sel_hi:[1,0]
	v_pk_add_f32 v[26:27], v[26:27], v[32:33] op_sel:[0,1] op_sel_hi:[1,0]
	v_pk_add_f32 v[32:33], v[66:67], v[32:33] op_sel:[0,1] op_sel_hi:[1,0] neg_lo:[0,1] neg_hi:[0,1]
	v_mov_b32_e32 v39, v31
	v_mov_b32_e32 v36, v32
	;; [unrolled: 1-line block ×6, first 2 shown]
	v_pk_fma_f32 v[36:37], v[24:25], s[2:3], v[36:37] op_sel_hi:[1,0,1]
	v_pk_fma_f32 v[24:25], v[24:25], s[2:3], v[26:27] op_sel_hi:[1,0,1]
	;; [unrolled: 1-line block ×3, first 2 shown]
	s_waitcnt vmcnt(0)
	v_pk_mul_f32 v[30:31], v[0:1], v[62:63] op_sel_hi:[0,1]
	v_pk_fma_f32 v[32:33], v[62:63], v[70:71], v[30:31] op_sel:[0,0,1] op_sel_hi:[1,1,0]
	v_pk_fma_f32 v[30:31], v[62:63], v[70:71], v[30:31] op_sel:[0,0,1] op_sel_hi:[1,0,0] neg_lo:[1,0,0] neg_hi:[1,0,0]
	v_mov_b32_e32 v0, v65
	v_mov_b32_e32 v33, v31
	v_pk_mul_f32 v[30:31], v[6:7], v[0:1] op_sel_hi:[1,0]
	v_mov_b32_e32 v38, v34
	v_pk_fma_f32 v[34:35], v[6:7], v[64:65], v[30:31] op_sel:[0,0,1] op_sel_hi:[1,1,0]
	v_pk_fma_f32 v[6:7], v[6:7], v[64:65], v[30:31] op_sel:[0,0,1] op_sel_hi:[1,0,0] neg_lo:[0,0,1] neg_hi:[0,0,1]
	v_mov_b32_e32 v0, v61
	v_mov_b32_e32 v35, v7
	v_pk_mul_f32 v[6:7], v[8:9], v[58:59] op_sel:[0,1]
	v_pk_fma_f32 v[38:39], v[80:81], s[2:3], v[38:39] op_sel_hi:[1,0,1]
	v_pk_fma_f32 v[30:31], v[8:9], v[58:59], v[6:7] op_sel:[0,0,1] op_sel_hi:[1,1,0]
	v_pk_fma_f32 v[6:7], v[8:9], v[58:59], v[6:7] op_sel:[0,0,1] op_sel_hi:[1,0,0] neg_lo:[0,0,1] neg_hi:[0,0,1]
	s_nop 0
	v_mov_b32_e32 v31, v7
	v_pk_mul_f32 v[6:7], v[42:43], v[0:1] op_sel_hi:[1,0]
	v_mov_b32_e32 v11, v3
	v_pk_fma_f32 v[8:9], v[42:43], v[60:61], v[6:7] op_sel:[0,0,1] op_sel_hi:[1,1,0]
	v_pk_fma_f32 v[6:7], v[42:43], v[60:61], v[6:7] op_sel:[0,0,1] op_sel_hi:[1,0,0] neg_lo:[0,0,1] neg_hi:[0,0,1]
	v_pk_add_f32 v[42:43], v[32:33], v[34:35] neg_lo:[0,1] neg_hi:[0,1]
	v_mov_b32_e32 v9, v7
	v_pk_add_f32 v[6:7], v[74:75], v[32:33]
	v_pk_add_f32 v[58:59], v[8:9], v[30:31] neg_lo:[0,1] neg_hi:[0,1]
	v_pk_add_f32 v[6:7], v[6:7], v[34:35]
	v_pk_add_f32 v[42:43], v[42:43], v[58:59]
	;; [unrolled: 1-line block ×5, first 2 shown]
	ds_write_b64 v116, v[76:77]
	ds_write_b64 v116, v[38:39] offset:2640
	ds_write_b64 v116, v[36:37] offset:5280
	;; [unrolled: 1-line block ×4, first 2 shown]
	ds_write_b64 v56, v[6:7]
	v_pk_add_f32 v[6:7], v[34:35], v[30:31]
	v_pk_add_f32 v[24:25], v[32:33], v[8:9] neg_lo:[0,1] neg_hi:[0,1]
	v_pk_fma_f32 v[6:7], v[6:7], 0.5, v[74:75] op_sel_hi:[1,0,1] neg_lo:[1,0,0] neg_hi:[1,0,0]
	v_pk_mul_f32 v[26:27], v[24:25], s[10:11] op_sel_hi:[1,0]
	v_pk_add_f32 v[36:37], v[34:35], v[30:31] neg_lo:[0,1] neg_hi:[0,1]
	v_pk_add_f32 v[58:59], v[6:7], v[26:27] op_sel:[0,1] op_sel_hi:[1,0] neg_lo:[0,1] neg_hi:[0,1]
	v_pk_mul_f32 v[38:39], v[36:37], s[12:13] op_sel_hi:[1,0]
	v_pk_add_f32 v[6:7], v[6:7], v[26:27] op_sel:[0,1] op_sel_hi:[1,0]
	v_pk_add_f32 v[26:27], v[58:59], v[38:39] op_sel:[0,1] op_sel_hi:[1,0] neg_lo:[0,1] neg_hi:[0,1]
	v_pk_add_f32 v[6:7], v[6:7], v[38:39] op_sel:[0,1] op_sel_hi:[1,0]
	v_mov_b32_e32 v38, v26
	v_mov_b32_e32 v39, v7
	v_pk_fma_f32 v[38:39], v[42:43], s[2:3], v[38:39] op_sel_hi:[1,0,1]
	ds_write_b64 v56, v[38:39] offset:2640
	v_pk_add_f32 v[38:39], v[32:33], v[8:9]
	v_pk_add_f32 v[32:33], v[34:35], v[32:33] neg_lo:[0,1] neg_hi:[0,1]
	v_pk_fma_f32 v[38:39], v[38:39], 0.5, v[74:75] op_sel_hi:[1,0,1] neg_lo:[1,0,0] neg_hi:[1,0,0]
	v_pk_add_f32 v[8:9], v[30:31], v[8:9] neg_lo:[0,1] neg_hi:[0,1]
	v_pk_mul_f32 v[30:31], v[36:37], s[10:11] op_sel_hi:[1,0]
	v_pk_add_f32 v[8:9], v[32:33], v[8:9]
	v_pk_mul_f32 v[24:25], v[24:25], s[12:13] op_sel_hi:[1,0]
	v_pk_add_f32 v[32:33], v[38:39], v[30:31] op_sel:[0,1] op_sel_hi:[1,0]
	v_pk_add_f32 v[30:31], v[38:39], v[30:31] op_sel:[0,1] op_sel_hi:[1,0] neg_lo:[0,1] neg_hi:[0,1]
	v_pk_add_f32 v[2:3], v[2:3], v[4:5]
	v_pk_add_f32 v[30:31], v[30:31], v[24:25] op_sel:[0,1] op_sel_hi:[1,0]
	v_pk_add_f32 v[24:25], v[32:33], v[24:25] op_sel:[0,1] op_sel_hi:[1,0] neg_lo:[0,1] neg_hi:[0,1]
	v_pk_add_f32 v[2:3], v[2:3], v[28:29]
	v_mov_b32_e32 v32, v24
	v_mov_b32_e32 v33, v31
	v_mov_b32_e32 v31, v25
	v_mov_b32_e32 v7, v27
	v_pk_add_f32 v[2:3], v[2:3], v[10:11]
	v_pk_fma_f32 v[32:33], v[8:9], s[2:3], v[32:33] op_sel_hi:[1,0,1]
	v_pk_fma_f32 v[8:9], v[8:9], s[2:3], v[30:31] op_sel_hi:[1,0,1]
	;; [unrolled: 1-line block ×3, first 2 shown]
	ds_write_b64 v56, v[32:33] offset:5280
	ds_write_b64 v56, v[8:9] offset:7920
	;; [unrolled: 1-line block ×3, first 2 shown]
	ds_write_b64 v55, v[2:3]
	v_pk_add_f32 v[2:3], v[4:5], v[28:29]
	v_pk_add_f32 v[6:7], v[78:79], v[10:11] neg_lo:[0,1] neg_hi:[0,1]
	v_pk_fma_f32 v[2:3], v[2:3], 0.5, v[40:41] op_sel_hi:[1,0,1] neg_lo:[1,0,0] neg_hi:[1,0,0]
	v_pk_mul_f32 v[8:9], v[6:7], s[10:11] op_sel_hi:[1,0]
	v_pk_add_f32 v[24:25], v[4:5], v[28:29] neg_lo:[0,1] neg_hi:[0,1]
	v_pk_add_f32 v[30:31], v[78:79], v[4:5] neg_lo:[0,1] neg_hi:[0,1]
	;; [unrolled: 1-line block ×3, first 2 shown]
	v_pk_mul_f32 v[26:27], v[24:25], s[12:13] op_sel_hi:[1,0]
	v_pk_add_f32 v[30:31], v[30:31], v[32:33]
	v_pk_add_f32 v[32:33], v[2:3], v[8:9] op_sel:[0,1] op_sel_hi:[1,0] neg_lo:[0,1] neg_hi:[0,1]
	v_pk_add_f32 v[2:3], v[2:3], v[8:9] op_sel:[0,1] op_sel_hi:[1,0]
	v_pk_add_f32 v[8:9], v[32:33], v[26:27] op_sel:[0,1] op_sel_hi:[1,0] neg_lo:[0,1] neg_hi:[0,1]
	v_pk_add_f32 v[2:3], v[2:3], v[26:27] op_sel:[0,1] op_sel_hi:[1,0]
	v_mov_b32_e32 v26, v8
	v_mov_b32_e32 v27, v3
	v_pk_fma_f32 v[26:27], v[30:31], s[2:3], v[26:27] op_sel_hi:[1,0,1]
	ds_write_b64 v55, v[26:27] offset:2640
	v_pk_add_f32 v[26:27], v[78:79], v[10:11]
	v_pk_add_f32 v[4:5], v[4:5], v[78:79] neg_lo:[0,1] neg_hi:[0,1]
	v_pk_add_f32 v[10:11], v[28:29], v[10:11] neg_lo:[0,1] neg_hi:[0,1]
	v_pk_fma_f32 v[26:27], v[26:27], 0.5, v[40:41] op_sel_hi:[1,0,1] neg_lo:[1,0,0] neg_hi:[1,0,0]
	v_pk_add_f32 v[4:5], v[4:5], v[10:11]
	v_pk_mul_f32 v[10:11], v[24:25], s[10:11] op_sel_hi:[1,0]
	v_pk_mul_f32 v[6:7], v[6:7], s[12:13] op_sel_hi:[1,0]
	v_pk_add_f32 v[24:25], v[26:27], v[10:11] op_sel:[0,1] op_sel_hi:[1,0]
	v_pk_add_f32 v[10:11], v[26:27], v[10:11] op_sel:[0,1] op_sel_hi:[1,0] neg_lo:[0,1] neg_hi:[0,1]
	v_mov_b32_e32 v3, v9
	v_pk_add_f32 v[10:11], v[10:11], v[6:7] op_sel:[0,1] op_sel_hi:[1,0]
	v_pk_add_f32 v[6:7], v[24:25], v[6:7] op_sel:[0,1] op_sel_hi:[1,0] neg_lo:[0,1] neg_hi:[0,1]
	v_mov_b32_e32 v25, v11
	v_mov_b32_e32 v24, v6
	;; [unrolled: 1-line block ×3, first 2 shown]
	v_pk_fma_f32 v[24:25], v[4:5], s[2:3], v[24:25] op_sel_hi:[1,0,1]
	v_pk_fma_f32 v[4:5], v[4:5], s[2:3], v[10:11] op_sel_hi:[1,0,1]
	;; [unrolled: 1-line block ×3, first 2 shown]
	ds_write_b64 v55, v[24:25] offset:5280
	ds_write_b64 v55, v[4:5] offset:7920
	;; [unrolled: 1-line block ×3, first 2 shown]
	s_waitcnt lgkmcnt(0)
	s_barrier
	ds_read_b64 v[6:7], v116
	v_lshlrev_b32_e32 v0, 3, v46
	v_sub_u32_e32 v8, 0, v0
	v_cmp_ne_u32_e64 s[2:3], 0, v46
                                        ; implicit-def: $vgpr4_vgpr5
                                        ; implicit-def: $vgpr3
	s_and_saveexec_b64 s[10:11], s[2:3]
	s_xor_b64 s[2:3], exec, s[10:11]
	s_cbranch_execz .LBB0_21
; %bb.20:
	v_mov_b32_e32 v47, v1
	v_lshl_add_u64 v[0:1], v[46:47], 3, s[8:9]
	global_load_dwordx2 v[0:1], v[0:1], off
	ds_read_b64 v[2:3], v8 offset:13200
	v_mov_b32_e32 v5, 0.5
	v_mov_b32_e32 v10, v5
	s_waitcnt lgkmcnt(0)
	v_pk_add_f32 v[24:25], v[2:3], v[6:7]
	v_pk_add_f32 v[2:3], v[6:7], v[2:3] neg_lo:[0,1] neg_hi:[0,1]
	v_mov_b32_e32 v6, v25
	v_mov_b32_e32 v7, v2
	v_pk_mul_f32 v[6:7], v[6:7], 0.5 op_sel_hi:[1,0]
	s_waitcnt vmcnt(0)
	v_mov_b32_e32 v4, v1
	v_mov_b32_e32 v2, v7
	;; [unrolled: 1-line block ×4, first 2 shown]
	v_pk_mul_f32 v[2:3], v[4:5], v[2:3]
	v_pk_mul_f32 v[26:27], v[0:1], v[6:7] op_sel_hi:[0,1]
	v_pk_fma_f32 v[4:5], v[24:25], v[10:11], v[2:3]
	v_pk_fma_f32 v[10:11], v[24:25], v[10:11], v[2:3] neg_lo:[0,0,1] neg_hi:[0,0,1]
	v_add_f32_e32 v2, v26, v4
	v_sub_f32_e32 v3, v5, v27
	ds_write_b32 v116, v2
	v_pk_fma_f32 v[4:5], v[0:1], v[6:7], v[10:11] op_sel_hi:[0,1,1] neg_lo:[1,0,0] neg_hi:[1,0,0]
                                        ; implicit-def: $vgpr6_vgpr7
.LBB0_21:
	s_andn2_saveexec_b64 s[2:3], s[2:3]
	s_cbranch_execz .LBB0_23
; %bb.22:
	s_waitcnt lgkmcnt(0)
	v_mov_b32_e32 v0, v7
	v_pk_add_f32 v[2:3], v[6:7], v[0:1] neg_lo:[0,1] neg_hi:[0,1]
	v_add_f32_e32 v1, v7, v6
	v_mov_b32_e32 v3, 0
	ds_read_b32 v0, v3 offset:6604
	v_mov_b64_e32 v[4:5], v[2:3]
	ds_write_b32 v116, v1
	s_waitcnt lgkmcnt(1)
	v_xor_b32_e32 v0, 0x80000000, v0
	ds_write_b32 v3, v0 offset:6604
.LBB0_23:
	s_or_b64 exec, exec, s[2:3]
	v_mov_b32_e32 v51, 0
	v_lshl_add_u64 v[0:1], v[50:51], 3, s[8:9]
	s_waitcnt lgkmcnt(0)
	global_load_dwordx2 v[6:7], v[0:1], off
	v_mov_b32_e32 v23, v51
	v_lshl_add_u64 v[0:1], v[22:23], 3, s[8:9]
	global_load_dwordx2 v[10:11], v[0:1], off
	v_mov_b32_e32 v21, v51
	v_lshl_add_u64 v[0:1], v[20:21], 3, s[8:9]
	;; [unrolled: 3-line block ×3, first 2 shown]
	global_load_dwordx2 v[18:19], v[0:1], off
	v_mov_b32_e32 v13, v51
	ds_write_b32 v116, v3 offset:4
	ds_write_b64 v8, v[4:5] offset:13200
	v_lshl_add_u64 v[12:13], v[12:13], 3, s[8:9]
	ds_read_b64 v[2:3], v56
	ds_read_b64 v[4:5], v8 offset:12320
	global_load_dwordx2 v[12:13], v[12:13], off
	v_mov_b32_e32 v1, 0.5
	v_mov_b32_e32 v22, v1
	v_mov_b32_e32 v15, v51
	s_waitcnt lgkmcnt(0)
	v_pk_add_f32 v[26:27], v[2:3], v[4:5]
	v_pk_add_f32 v[2:3], v[2:3], v[4:5] neg_lo:[0,1] neg_hi:[0,1]
	v_mov_b32_e32 v4, v27
	v_mov_b32_e32 v5, v2
	v_pk_mul_f32 v[4:5], v[4:5], 0.5 op_sel_hi:[1,0]
	v_mov_b32_e32 v24, v1
	v_mov_b32_e32 v2, v5
	;; [unrolled: 1-line block ×3, first 2 shown]
	s_waitcnt vmcnt(4)
	v_mov_b32_e32 v0, v7
	v_mov_b32_e32 v23, v7
	v_pk_mul_f32 v[2:3], v[0:1], v[2:3]
	s_waitcnt vmcnt(3)
	v_mov_b32_e32 v0, v11
	v_pk_fma_f32 v[28:29], v[26:27], v[22:23], v[2:3]
	v_pk_fma_f32 v[2:3], v[26:27], v[22:23], v[2:3] neg_lo:[0,0,1] neg_hi:[0,0,1]
	v_pk_fma_f32 v[22:23], v[6:7], v[4:5], v[28:29]
	v_pk_fma_f32 v[26:27], v[6:7], v[4:5], v[28:29] op_sel_hi:[0,1,1] neg_lo:[1,0,0] neg_hi:[1,0,0]
	v_mov_b32_e32 v23, v27
	v_pk_fma_f32 v[2:3], v[6:7], v[4:5], v[2:3] op_sel_hi:[0,1,1] neg_lo:[1,0,0] neg_hi:[1,0,0]
	ds_write_b64 v56, v[22:23]
	ds_write_b64 v8, v[2:3] offset:12320
	v_lshl_add_u64 v[6:7], v[14:15], 3, s[8:9]
	ds_read_b64 v[2:3], v55
	ds_read_b64 v[4:5], v8 offset:11440
	global_load_dwordx2 v[6:7], v[6:7], off
	v_mov_b32_e32 v25, v11
	s_waitcnt lgkmcnt(0)
	v_pk_add_f32 v[14:15], v[2:3], v[4:5]
	v_pk_add_f32 v[2:3], v[2:3], v[4:5] neg_lo:[0,1] neg_hi:[0,1]
	v_mov_b32_e32 v4, v15
	v_mov_b32_e32 v5, v2
	v_pk_mul_f32 v[4:5], v[4:5], 0.5 op_sel_hi:[1,0]
	s_nop 0
	v_mov_b32_e32 v2, v5
	v_mov_b32_e32 v15, v4
	v_pk_mul_f32 v[2:3], v[0:1], v[2:3]
	s_waitcnt vmcnt(3)
	v_mov_b32_e32 v0, v21
	v_pk_fma_f32 v[22:23], v[14:15], v[24:25], v[2:3]
	v_pk_fma_f32 v[2:3], v[14:15], v[24:25], v[2:3] neg_lo:[0,0,1] neg_hi:[0,0,1]
	v_pk_fma_f32 v[14:15], v[10:11], v[4:5], v[22:23]
	v_pk_fma_f32 v[22:23], v[10:11], v[4:5], v[22:23] op_sel_hi:[0,1,1] neg_lo:[1,0,0] neg_hi:[1,0,0]
	v_mov_b32_e32 v15, v23
	v_pk_fma_f32 v[2:3], v[10:11], v[4:5], v[2:3] op_sel_hi:[0,1,1] neg_lo:[1,0,0] neg_hi:[1,0,0]
	ds_write_b64 v55, v[14:15]
	ds_write_b64 v8, v[2:3] offset:11440
	ds_read_b64 v[2:3], v54
	ds_read_b64 v[4:5], v8 offset:10560
	v_mov_b32_e32 v10, v1
	v_mov_b32_e32 v11, v21
	s_waitcnt lgkmcnt(0)
	v_pk_add_f32 v[14:15], v[2:3], v[4:5]
	v_pk_add_f32 v[2:3], v[2:3], v[4:5] neg_lo:[0,1] neg_hi:[0,1]
	v_mov_b32_e32 v4, v15
	v_mov_b32_e32 v5, v2
	v_pk_mul_f32 v[4:5], v[4:5], 0.5 op_sel_hi:[1,0]
	s_nop 0
	v_mov_b32_e32 v2, v5
	v_mov_b32_e32 v15, v4
	v_pk_mul_f32 v[2:3], v[0:1], v[2:3]
	s_waitcnt vmcnt(2)
	v_mov_b32_e32 v0, v19
	v_pk_fma_f32 v[22:23], v[14:15], v[10:11], v[2:3]
	v_pk_fma_f32 v[2:3], v[14:15], v[10:11], v[2:3] neg_lo:[0,0,1] neg_hi:[0,0,1]
	v_pk_fma_f32 v[10:11], v[20:21], v[4:5], v[22:23]
	v_pk_fma_f32 v[14:15], v[20:21], v[4:5], v[22:23] op_sel_hi:[0,1,1] neg_lo:[1,0,0] neg_hi:[1,0,0]
	v_mov_b32_e32 v11, v15
	v_pk_fma_f32 v[2:3], v[20:21], v[4:5], v[2:3] op_sel_hi:[0,1,1] neg_lo:[1,0,0] neg_hi:[1,0,0]
	ds_write_b64 v54, v[10:11]
	ds_write_b64 v8, v[2:3] offset:10560
	ds_read_b64 v[2:3], v53
	ds_read_b64 v[4:5], v8 offset:9680
	v_mov_b32_e32 v10, v1
	;; [unrolled: 24-line block ×3, first 2 shown]
	v_mov_b32_e32 v11, v13
	s_waitcnt lgkmcnt(0)
	v_pk_add_f32 v[14:15], v[2:3], v[4:5]
	v_pk_add_f32 v[2:3], v[2:3], v[4:5] neg_lo:[0,1] neg_hi:[0,1]
	v_mov_b32_e32 v4, v15
	v_mov_b32_e32 v5, v2
	v_pk_mul_f32 v[4:5], v[4:5], 0.5 op_sel_hi:[1,0]
	s_nop 0
	v_mov_b32_e32 v2, v5
	v_mov_b32_e32 v15, v4
	v_pk_mul_f32 v[2:3], v[0:1], v[2:3]
	s_waitcnt vmcnt(0)
	v_mov_b32_e32 v0, v7
	v_pk_fma_f32 v[18:19], v[14:15], v[10:11], v[2:3]
	v_pk_fma_f32 v[2:3], v[14:15], v[10:11], v[2:3] neg_lo:[0,0,1] neg_hi:[0,0,1]
	v_pk_fma_f32 v[10:11], v[12:13], v[4:5], v[18:19]
	v_pk_fma_f32 v[14:15], v[12:13], v[4:5], v[18:19] op_sel_hi:[0,1,1] neg_lo:[1,0,0] neg_hi:[1,0,0]
	v_mov_b32_e32 v11, v15
	v_pk_fma_f32 v[2:3], v[12:13], v[4:5], v[2:3] op_sel_hi:[0,1,1] neg_lo:[1,0,0] neg_hi:[1,0,0]
	ds_write_b64 v52, v[10:11]
	ds_write_b64 v8, v[2:3] offset:8800
	ds_read_b64 v[2:3], v17 offset:5280
	ds_read_b64 v[4:5], v8 offset:7920
	v_mov_b32_e32 v10, v1
	v_mov_b32_e32 v11, v7
	s_waitcnt lgkmcnt(0)
	v_pk_add_f32 v[12:13], v[2:3], v[4:5]
	v_pk_add_f32 v[2:3], v[2:3], v[4:5] neg_lo:[0,1] neg_hi:[0,1]
	v_mov_b32_e32 v4, v13
	v_mov_b32_e32 v5, v2
	v_pk_mul_f32 v[4:5], v[4:5], 0.5 op_sel_hi:[1,0]
	s_nop 0
	v_mov_b32_e32 v2, v5
	v_mov_b32_e32 v13, v4
	v_pk_mul_f32 v[2:3], v[0:1], v[2:3]
	s_nop 0
	v_pk_fma_f32 v[14:15], v[12:13], v[10:11], v[2:3]
	v_pk_fma_f32 v[2:3], v[12:13], v[10:11], v[2:3] neg_lo:[0,0,1] neg_hi:[0,0,1]
	v_pk_fma_f32 v[10:11], v[6:7], v[4:5], v[14:15]
	v_pk_fma_f32 v[12:13], v[6:7], v[4:5], v[14:15] op_sel_hi:[0,1,1] neg_lo:[1,0,0] neg_hi:[1,0,0]
	v_mov_b32_e32 v11, v13
	v_pk_fma_f32 v[2:3], v[6:7], v[4:5], v[2:3] op_sel_hi:[0,1,1] neg_lo:[1,0,0] neg_hi:[1,0,0]
	ds_write_b64 v17, v[10:11] offset:5280
	ds_write_b64 v8, v[2:3] offset:7920
	s_and_saveexec_b64 s[2:3], vcc
	s_cbranch_execz .LBB0_25
; %bb.24:
	v_mov_b32_e32 v17, v51
	v_lshl_add_u64 v[2:3], v[16:17], 3, s[8:9]
	global_load_dwordx2 v[2:3], v[2:3], off
	ds_read_b64 v[4:5], v116 offset:6160
	ds_read_b64 v[6:7], v8 offset:7040
	v_mov_b32_e32 v10, v1
	s_waitcnt lgkmcnt(0)
	v_pk_add_f32 v[12:13], v[4:5], v[6:7]
	v_pk_add_f32 v[4:5], v[4:5], v[6:7] neg_lo:[0,1] neg_hi:[0,1]
	v_mov_b32_e32 v6, v13
	v_mov_b32_e32 v7, v4
	v_pk_mul_f32 v[6:7], v[6:7], 0.5 op_sel_hi:[1,0]
	s_waitcnt vmcnt(0)
	v_mov_b32_e32 v0, v3
	v_mov_b32_e32 v4, v7
	;; [unrolled: 1-line block ×4, first 2 shown]
	v_pk_mul_f32 v[0:1], v[0:1], v[4:5]
	s_nop 0
	v_pk_fma_f32 v[4:5], v[12:13], v[10:11], v[0:1]
	v_pk_fma_f32 v[0:1], v[12:13], v[10:11], v[0:1] neg_lo:[0,0,1] neg_hi:[0,0,1]
	v_pk_fma_f32 v[10:11], v[2:3], v[6:7], v[4:5]
	v_pk_fma_f32 v[4:5], v[2:3], v[6:7], v[4:5] op_sel_hi:[0,1,1] neg_lo:[1,0,0] neg_hi:[1,0,0]
	v_mov_b32_e32 v11, v5
	v_pk_fma_f32 v[0:1], v[2:3], v[6:7], v[0:1] op_sel_hi:[0,1,1] neg_lo:[1,0,0] neg_hi:[1,0,0]
	ds_write_b64 v116, v[10:11] offset:6160
	ds_write_b64 v8, v[0:1] offset:7040
.LBB0_25:
	s_or_b64 exec, exec, s[2:3]
	s_waitcnt lgkmcnt(0)
	s_barrier
	s_and_saveexec_b64 s[2:3], s[0:1]
	s_cbranch_execz .LBB0_28
; %bb.26:
	v_mul_lo_u32 v2, s5, v48
	v_mul_lo_u32 v3, s4, v49
	v_mad_u64_u32 v[0:1], s[0:1], s4, v48, 0
	v_lshl_add_u32 v10, v46, 3, 0
	v_add3_u32 v1, v1, v3, v2
	ds_read2_b64 v[2:5], v10 offset1:110
	v_lshl_add_u64 v[0:1], v[0:1], 3, s[6:7]
	v_mov_b32_e32 v47, 0
	v_lshl_add_u64 v[0:1], v[44:45], 3, v[0:1]
	v_lshl_add_u64 v[6:7], v[46:47], 3, v[0:1]
	s_waitcnt lgkmcnt(0)
	global_store_dwordx2 v[6:7], v[2:3], off
	v_add_u32_e32 v6, 0x400, v10
	ds_read2_b64 v[6:9], v6 offset0:92 offset1:202
	v_add_u32_e32 v2, 0x6e, v46
	v_mov_b32_e32 v3, v47
	v_lshl_add_u64 v[2:3], v[2:3], 3, v[0:1]
	global_store_dwordx2 v[2:3], v[4:5], off
	v_add_u32_e32 v2, 0xdc, v46
	v_mov_b32_e32 v3, v47
	v_lshl_add_u64 v[2:3], v[2:3], 3, v[0:1]
	s_waitcnt lgkmcnt(0)
	global_store_dwordx2 v[2:3], v[6:7], off
	v_add_u32_e32 v2, 0x14a, v46
	v_mov_b32_e32 v3, v47
	v_lshl_add_u64 v[6:7], v[2:3], 3, v[0:1]
	v_add_u32_e32 v2, 0xc00, v10
	ds_read2_b64 v[2:5], v2 offset0:56 offset1:166
	global_store_dwordx2 v[6:7], v[8:9], off
	v_add_u32_e32 v6, 0x1b8, v46
	v_mov_b32_e32 v7, v47
	v_lshl_add_u64 v[6:7], v[6:7], 3, v[0:1]
	s_waitcnt lgkmcnt(0)
	global_store_dwordx2 v[6:7], v[2:3], off
	v_add_u32_e32 v6, 0x1400, v10
	ds_read2_b64 v[6:9], v6 offset0:20 offset1:130
	v_add_u32_e32 v2, 0x226, v46
	v_mov_b32_e32 v3, v47
	v_lshl_add_u64 v[2:3], v[2:3], 3, v[0:1]
	global_store_dwordx2 v[2:3], v[4:5], off
	v_add_u32_e32 v2, 0x294, v46
	v_mov_b32_e32 v3, v47
	v_lshl_add_u64 v[2:3], v[2:3], 3, v[0:1]
	s_waitcnt lgkmcnt(0)
	global_store_dwordx2 v[2:3], v[6:7], off
	v_add_u32_e32 v2, 0x302, v46
	v_mov_b32_e32 v3, v47
	v_lshl_add_u64 v[6:7], v[2:3], 3, v[0:1]
	v_add_u32_e32 v2, 0x1800, v10
	ds_read2_b64 v[2:5], v2 offset0:112 offset1:222
	global_store_dwordx2 v[6:7], v[8:9], off
	v_add_u32_e32 v6, 0x370, v46
	v_mov_b32_e32 v7, v47
	;; [unrolled: 22-line block ×3, first 2 shown]
	v_lshl_add_u64 v[6:7], v[6:7], 3, v[0:1]
	s_waitcnt lgkmcnt(0)
	global_store_dwordx2 v[6:7], v[2:3], off
	ds_read_b64 v[6:7], v10 offset:12320
	v_add_u32_e32 v2, 0x596, v46
	v_mov_b32_e32 v3, v47
	v_lshl_add_u64 v[2:3], v[2:3], 3, v[0:1]
	global_store_dwordx2 v[2:3], v[4:5], off
	v_add_u32_e32 v2, 0x604, v46
	v_mov_b32_e32 v3, v47
	s_movk_i32 s0, 0x6d
	v_lshl_add_u64 v[2:3], v[2:3], 3, v[0:1]
	v_cmp_eq_u32_e32 vcc, s0, v46
	s_waitcnt lgkmcnt(0)
	global_store_dwordx2 v[2:3], v[6:7], off
	s_and_b64 exec, exec, vcc
	s_cbranch_execz .LBB0_28
; %bb.27:
	ds_read_b64 v[2:3], v47 offset:13200
	v_add_co_u32_e32 v0, vcc, 0x3000, v0
	s_nop 1
	v_addc_co_u32_e32 v1, vcc, 0, v1, vcc
	s_waitcnt lgkmcnt(0)
	global_store_dwordx2 v[0:1], v[2:3], off offset:912
.LBB0_28:
	s_endpgm
	.section	.rodata,"a",@progbits
	.p2align	6, 0x0
	.amdhsa_kernel fft_rtc_back_len1650_factors_11_2_3_5_5_wgs_110_tpt_110_halfLds_sp_op_CI_CI_unitstride_sbrr_R2C_dirReg
		.amdhsa_group_segment_fixed_size 0
		.amdhsa_private_segment_fixed_size 0
		.amdhsa_kernarg_size 104
		.amdhsa_user_sgpr_count 2
		.amdhsa_user_sgpr_dispatch_ptr 0
		.amdhsa_user_sgpr_queue_ptr 0
		.amdhsa_user_sgpr_kernarg_segment_ptr 1
		.amdhsa_user_sgpr_dispatch_id 0
		.amdhsa_user_sgpr_kernarg_preload_length 0
		.amdhsa_user_sgpr_kernarg_preload_offset 0
		.amdhsa_user_sgpr_private_segment_size 0
		.amdhsa_uses_dynamic_stack 0
		.amdhsa_enable_private_segment 0
		.amdhsa_system_sgpr_workgroup_id_x 1
		.amdhsa_system_sgpr_workgroup_id_y 0
		.amdhsa_system_sgpr_workgroup_id_z 0
		.amdhsa_system_sgpr_workgroup_info 0
		.amdhsa_system_vgpr_workitem_id 0
		.amdhsa_next_free_vgpr 140
		.amdhsa_next_free_sgpr 40
		.amdhsa_accum_offset 140
		.amdhsa_reserve_vcc 1
		.amdhsa_float_round_mode_32 0
		.amdhsa_float_round_mode_16_64 0
		.amdhsa_float_denorm_mode_32 3
		.amdhsa_float_denorm_mode_16_64 3
		.amdhsa_dx10_clamp 1
		.amdhsa_ieee_mode 1
		.amdhsa_fp16_overflow 0
		.amdhsa_tg_split 0
		.amdhsa_exception_fp_ieee_invalid_op 0
		.amdhsa_exception_fp_denorm_src 0
		.amdhsa_exception_fp_ieee_div_zero 0
		.amdhsa_exception_fp_ieee_overflow 0
		.amdhsa_exception_fp_ieee_underflow 0
		.amdhsa_exception_fp_ieee_inexact 0
		.amdhsa_exception_int_div_zero 0
	.end_amdhsa_kernel
	.text
.Lfunc_end0:
	.size	fft_rtc_back_len1650_factors_11_2_3_5_5_wgs_110_tpt_110_halfLds_sp_op_CI_CI_unitstride_sbrr_R2C_dirReg, .Lfunc_end0-fft_rtc_back_len1650_factors_11_2_3_5_5_wgs_110_tpt_110_halfLds_sp_op_CI_CI_unitstride_sbrr_R2C_dirReg
                                        ; -- End function
	.section	.AMDGPU.csdata,"",@progbits
; Kernel info:
; codeLenInByte = 12944
; NumSgprs: 46
; NumVgprs: 140
; NumAgprs: 0
; TotalNumVgprs: 140
; ScratchSize: 0
; MemoryBound: 0
; FloatMode: 240
; IeeeMode: 1
; LDSByteSize: 0 bytes/workgroup (compile time only)
; SGPRBlocks: 5
; VGPRBlocks: 17
; NumSGPRsForWavesPerEU: 46
; NumVGPRsForWavesPerEU: 140
; AccumOffset: 140
; Occupancy: 3
; WaveLimiterHint : 1
; COMPUTE_PGM_RSRC2:SCRATCH_EN: 0
; COMPUTE_PGM_RSRC2:USER_SGPR: 2
; COMPUTE_PGM_RSRC2:TRAP_HANDLER: 0
; COMPUTE_PGM_RSRC2:TGID_X_EN: 1
; COMPUTE_PGM_RSRC2:TGID_Y_EN: 0
; COMPUTE_PGM_RSRC2:TGID_Z_EN: 0
; COMPUTE_PGM_RSRC2:TIDIG_COMP_CNT: 0
; COMPUTE_PGM_RSRC3_GFX90A:ACCUM_OFFSET: 34
; COMPUTE_PGM_RSRC3_GFX90A:TG_SPLIT: 0
	.text
	.p2alignl 6, 3212836864
	.fill 256, 4, 3212836864
	.type	__hip_cuid_7cf71c091c679d15,@object ; @__hip_cuid_7cf71c091c679d15
	.section	.bss,"aw",@nobits
	.globl	__hip_cuid_7cf71c091c679d15
__hip_cuid_7cf71c091c679d15:
	.byte	0                               ; 0x0
	.size	__hip_cuid_7cf71c091c679d15, 1

	.ident	"AMD clang version 19.0.0git (https://github.com/RadeonOpenCompute/llvm-project roc-6.4.0 25133 c7fe45cf4b819c5991fe208aaa96edf142730f1d)"
	.section	".note.GNU-stack","",@progbits
	.addrsig
	.addrsig_sym __hip_cuid_7cf71c091c679d15
	.amdgpu_metadata
---
amdhsa.kernels:
  - .agpr_count:     0
    .args:
      - .actual_access:  read_only
        .address_space:  global
        .offset:         0
        .size:           8
        .value_kind:     global_buffer
      - .offset:         8
        .size:           8
        .value_kind:     by_value
      - .actual_access:  read_only
        .address_space:  global
        .offset:         16
        .size:           8
        .value_kind:     global_buffer
      - .actual_access:  read_only
        .address_space:  global
        .offset:         24
        .size:           8
        .value_kind:     global_buffer
      - .actual_access:  read_only
        .address_space:  global
        .offset:         32
        .size:           8
        .value_kind:     global_buffer
      - .offset:         40
        .size:           8
        .value_kind:     by_value
      - .actual_access:  read_only
        .address_space:  global
        .offset:         48
        .size:           8
        .value_kind:     global_buffer
      - .actual_access:  read_only
        .address_space:  global
        .offset:         56
        .size:           8
        .value_kind:     global_buffer
      - .offset:         64
        .size:           4
        .value_kind:     by_value
      - .actual_access:  read_only
        .address_space:  global
        .offset:         72
        .size:           8
        .value_kind:     global_buffer
      - .actual_access:  read_only
        .address_space:  global
        .offset:         80
        .size:           8
        .value_kind:     global_buffer
      - .actual_access:  read_only
        .address_space:  global
        .offset:         88
        .size:           8
        .value_kind:     global_buffer
      - .actual_access:  write_only
        .address_space:  global
        .offset:         96
        .size:           8
        .value_kind:     global_buffer
    .group_segment_fixed_size: 0
    .kernarg_segment_align: 8
    .kernarg_segment_size: 104
    .language:       OpenCL C
    .language_version:
      - 2
      - 0
    .max_flat_workgroup_size: 110
    .name:           fft_rtc_back_len1650_factors_11_2_3_5_5_wgs_110_tpt_110_halfLds_sp_op_CI_CI_unitstride_sbrr_R2C_dirReg
    .private_segment_fixed_size: 0
    .sgpr_count:     46
    .sgpr_spill_count: 0
    .symbol:         fft_rtc_back_len1650_factors_11_2_3_5_5_wgs_110_tpt_110_halfLds_sp_op_CI_CI_unitstride_sbrr_R2C_dirReg.kd
    .uniform_work_group_size: 1
    .uses_dynamic_stack: false
    .vgpr_count:     140
    .vgpr_spill_count: 0
    .wavefront_size: 64
amdhsa.target:   amdgcn-amd-amdhsa--gfx950
amdhsa.version:
  - 1
  - 2
...

	.end_amdgpu_metadata
